;; amdgpu-corpus repo=ROCm/aiter kind=harvested arch=n/a opt=n/a

/root/src/amdgpu-assembly/repos/ROCm__aiter/hsa/gfx942/fmoe/silu/fmoe_fp16_pertokenFp8_g1u1_vs_tkw1_silu_1tg_32x128.co:	file format elf64-amdgpu

Disassembly of section .text:

0000000000002e00 <_ZN5aiter50fmoe_fp16_pertokenFp8_g1u1_vs_tkw1_silu_1tg_32x128E>:
	s_and_b32 s1, s1, 0xffff                                   // 000000002E00: 8601FF01 0000FFFF
	s_load_dwordx2 s[8:9], s[0:1], 0x0                         // 000000002E08: C0060200 00000000
	s_load_dwordx2 s[20:21], s[0:1], 0x10                      // 000000002E10: C0060500 00000010
	s_load_dwordx2 s[24:25], s[0:1], 0x20                      // 000000002E18: C0060600 00000020
	s_load_dwordx2 s[50:51], s[0:1], 0x30                      // 000000002E20: C0060C80 00000030
	s_load_dwordx2 s[12:13], s[0:1], 0x40                      // 000000002E28: C0060300 00000040
	s_load_dwordx2 s[28:29], s[0:1], 0x50                      // 000000002E30: C0060700 00000050
	s_load_dwordx2 s[32:33], s[0:1], 0x60                      // 000000002E38: C0060800 00000060
	s_load_dwordx2 s[16:17], s[0:1], 0x70                      // 000000002E40: C0060400 00000070
	s_load_dwordx2 s[36:37], s[0:1], 0x80                      // 000000002E48: C0060900 00000080
	s_load_dwordx2 s[44:45], s[0:1], 0x90                      // 000000002E50: C0060B00 00000090
	s_load_dwordx2 s[40:41], s[0:1], 0xa0                      // 000000002E58: C0060A00 000000A0
	s_load_dwordx2 s[46:47], s[0:1], 0xb0                      // 000000002E60: C0060B80 000000B0
	s_load_dword s64, s[0:1], 0xc0                             // 000000002E68: C0021000 000000C0
	s_load_dword s65, s[0:1], 0xd0                             // 000000002E70: C0021040 000000D0
	s_load_dword s66, s[0:1], 0xe0                             // 000000002E78: C0021080 000000E0
	s_load_dword s67, s[0:1], 0xf0                             // 000000002E80: C00210C0 000000F0
	s_load_dword s68, s[0:1], 0x100                            // 000000002E88: C0021100 00000100
	s_load_dword s69, s[0:1], 0x110                            // 000000002E90: C0021140 00000110
	s_load_dword s70, s[0:1], 0x120                            // 000000002E98: C0021180 00000120
	s_load_dword s71, s[0:1], 0x130                            // 000000002EA0: C00211C0 00000130
	s_load_dword s72, s[0:1], 0x140                            // 000000002EA8: C0021200 00000140
	s_load_dword s73, s[0:1], 0x150                            // 000000002EB0: C0021240 00000150
	s_load_dword s74, s[0:1], 0x160                            // 000000002EB8: C0021280 00000160
	s_load_dword s75, s[0:1], 0x170                            // 000000002EC0: C00212C0 00000170
	s_load_dword s76, s[0:1], 0x180                            // 000000002EC8: C0021300 00000180
	v_lshrrev_b32_e32 v1, 10, v0                               // 000000002ED0: 2002008A
	v_lshrrev_b32_e32 v2, 10, v1                               // 000000002ED4: 2004028A
	v_and_b32_e32 v2, 0x3ff, v2                                // 000000002ED8: 260404FF 000003FF
	v_and_b32_e32 v1, 0x3ff, v1                                // 000000002EE0: 260202FF 000003FF
	v_and_b32_e32 v0, 0x3ff, v0                                // 000000002EE8: 260000FF 000003FF
	v_lshrrev_b32_e32 v3, 6, v0                                // 000000002EF0: 20060086
	v_and_b32_e32 v0, 63, v0                                   // 000000002EF4: 260000BF
	s_mov_b32 s2, s2                                           // 000000002EF8: BE820002
	s_mov_b32 s3, s3                                           // 000000002EFC: BE830003
	s_mov_b32 s4, s4                                           // 000000002F00: BE840004
	v_readfirstlane_b32 s7, v3                                 // 000000002F04: 7E0E0503
	s_waitcnt lgkmcnt(0)                                       // 000000002F08: BF8CC07F
	s_and_b32 s51, s51, 0xffff                                 // 000000002F0C: 8633FF33 0000FFFF
	s_load_dword s50, s[50:51], 0x0                            // 000000002F14: C0020C99 00000000
	s_and_b32 s45, s45, 0xffff                                 // 000000002F1C: 862DFF2D 0000FFFF
	s_and_b32 s47, s47, 0xffff                                 // 000000002F24: 862FFF2F 0000FFFF
	s_and_b32 s9, s9, 0xffff                                   // 000000002F2C: 8609FF09 0000FFFF
	s_mul_i32 s60, s66, s68                                    // 000000002F34: 923C4442
	s_mul_i32 s61, s66, 4                                      // 000000002F38: 923D8442
	s_mov_b32 s22, s60                                         // 000000002F3C: BE96003C
	s_mov_b32 s26, 0x80000000                                  // 000000002F40: BE9A00FF 80000000
	s_mov_b32 s14, 0x80000000                                  // 000000002F48: BE8E00FF 80000000
	s_mov_b32 s42, 0x80000000                                  // 000000002F50: BEAA00FF 80000000
	s_mov_b32 s30, s61                                         // 000000002F58: BE9E003D
	s_mov_b32 s34, 0x200                                       // 000000002F5C: BEA200FF 00000200
	s_mov_b32 s38, 0x200                                       // 000000002F64: BEA600FF 00000200
	s_mov_b32 s18, 0x80000000                                  // 000000002F6C: BE9200FF 80000000
	s_mov_b32 s23, 0x20000                                     // 000000002F74: BE9700FF 00020000
	s_mov_b32 s27, 0x20000                                     // 000000002F7C: BE9B00FF 00020000
	s_mov_b32 s15, 0x20000                                     // 000000002F84: BE8F00FF 00020000
	s_mov_b32 s43, 0x20000                                     // 000000002F8C: BEAB00FF 00020000
	s_mov_b32 s31, 0x20000                                     // 000000002F94: BE9F00FF 00020000
	s_mov_b32 s35, 0x20000                                     // 000000002F9C: BEA300FF 00020000
	s_mov_b32 s39, 0x20000                                     // 000000002FA4: BEA700FF 00020000
	s_mov_b32 s19, 0x20000                                     // 000000002FAC: BE9300FF 00020000
	s_and_b32 s21, s21, 0xffff                                 // 000000002FB4: 8615FF15 0000FFFF
	s_and_b32 s25, s25, 0xffff                                 // 000000002FBC: 8619FF19 0000FFFF
	s_and_b32 s13, s13, 0xffff                                 // 000000002FC4: 860DFF0D 0000FFFF
	s_and_b32 s41, s41, 0xffff                                 // 000000002FCC: 8629FF29 0000FFFF
	s_and_b32 s29, s29, 0xffff                                 // 000000002FD4: 861DFF1D 0000FFFF
	s_and_b32 s33, s33, 0xffff                                 // 000000002FDC: 8621FF21 0000FFFF
	s_and_b32 s37, s37, 0xffff                                 // 000000002FE4: 8625FF25 0000FFFF
	s_and_b32 s17, s17, 0xffff                                 // 000000002FEC: 8611FF11 0000FFFF
	s_or_b32 s21, s21, 0x40000                                 // 000000002FF4: 8715FF15 00040000
	s_or_b32 s25, s25, 0x40000                                 // 000000002FFC: 8719FF19 00040000
	s_or_b32 s13, s13, 0x40000                                 // 000000003004: 870DFF0D 00040000
	s_or_b32 s41, s41, 0x40000                                 // 00000000300C: 8729FF29 00040000
	s_or_b32 s29, s29, 0x40000                                 // 000000003014: 871DFF1D 00040000
	s_or_b32 s33, s33, 0x40000                                 // 00000000301C: 8721FF21 00040000
	s_or_b32 s37, s37, 0x40000                                 // 000000003024: 8725FF25 00040000
	s_or_b32 s17, s17, 0x40000                                 // 00000000302C: 8711FF11 00040000
	v_accvgpr_write_b32 a63, 0                                 // 000000003034: D3D9403F 18000080
	v_mov_b32_e32 v207, 0                                      // 00000000303C: 7F9E0280
	s_waitcnt lgkmcnt(0)                                       // 000000003040: BF8CC07F
	s_mul_i32 s60, s3, 32                                      // 000000003044: 923CA003
	s_cmp_lt_i32 s60, s50                                      // 000000003048: BF04323C
	s_cbranch_scc0 label_0F15                                  // 00000000304C: BF840E81
	s_mov_b32 s80, 0                                           // 000000003050: BED00080
	s_mov_b32 s81, s64                                         // 000000003054: BED10040
	s_mul_i32 s60, s3, 4                                       // 000000003058: 923C8403
	s_add_u32 s46, s60, s46                                    // 00000000305C: 802E2E3C
	s_addc_u32 s47, 0, s47                                     // 000000003060: 822F2F80
	s_load_dword s5, s[46:47], 0x0                             // 000000003064: C0020157 00000000
	s_mul_i32 s60, s3, 32                                      // 00000000306C: 923CA003
	s_mul_i32 s60, 4, s60                                      // 000000003070: 923C3C84
	v_and_b32_e32 v44, 15, v0                                  // 000000003074: 2658008F
	v_lshlrev_b32_e32 v44, 2, v44                              // 000000003078: 24585882
	v_add_u32_e32 v44, s60, v44                                // 00000000307C: 6858583C
	v_mov_b32_e32 v45, 0                                       // 000000003080: 7E5A0280
	global_load_dword v6, v44, s[44:45]                        // 000000003084: DC508000 062C002C
	v_add_u32_e32 v44, 64, v44                                 // 00000000308C: 685858C0
	global_load_dword v7, v44, s[44:45]                        // 000000003090: DC508000 072C002C
	s_mul_i32 s60, s3, 32                                      // 000000003098: 923CA003
	s_add_u32 s60, s7, s60                                     // 00000000309C: 803C3C07
	s_mul_i32 s60, 4, s60                                      // 0000000030A0: 923C3C84
	s_add_u32 s44, s60, s44                                    // 0000000030A4: 802C2C3C
	s_addc_u32 s45, 0, s45                                     // 0000000030A8: 822D2D80
	s_load_dword s82, s[44:45], 0x0                            // 0000000030AC: C0021496 00000000
	s_load_dword s83, s[44:45], 0x10                           // 0000000030B4: C00214D6 00000010
	s_load_dword s84, s[44:45], 0x20                           // 0000000030BC: C0021516 00000020
	s_load_dword s85, s[44:45], 0x30                           // 0000000030C4: C0021556 00000030
	s_load_dword s86, s[44:45], 0x40                           // 0000000030CC: C0021596 00000040
	s_load_dword s87, s[44:45], 0x50                           // 0000000030D4: C00215D6 00000050
	s_load_dword s88, s[44:45], 0x60                           // 0000000030DC: C0021616 00000060
	s_load_dword s89, s[44:45], 0x70                           // 0000000030E4: C0021656 00000070
	s_waitcnt lgkmcnt(0)                                       // 0000000030EC: BF8CC07F
	v_lshlrev_b32_e32 v44, 2, v0                               // 0000000030F0: 24580082
	s_and_b32 s82, s82, 0xffffff                               // 0000000030F4: 8652FF52 00FFFFFF
	s_mul_i32 s60, s82, s68                                    // 0000000030FC: 923C4452
	v_add_u32_e64 v24, v44, s60                                // 000000003100: D1340018 0000792C
	s_and_b32 s83, s83, 0xffffff                               // 000000003108: 8653FF53 00FFFFFF
	s_mul_i32 s60, s83, s68                                    // 000000003110: 923C4453
	v_add_u32_e64 v25, v44, s60                                // 000000003114: D1340019 0000792C
	s_and_b32 s84, s84, 0xffffff                               // 00000000311C: 8654FF54 00FFFFFF
	s_mul_i32 s60, s84, s68                                    // 000000003124: 923C4454
	v_add_u32_e64 v26, v44, s60                                // 000000003128: D134001A 0000792C
	s_and_b32 s85, s85, 0xffffff                               // 000000003130: 8655FF55 00FFFFFF
	s_mul_i32 s60, s85, s68                                    // 000000003138: 923C4455
	v_add_u32_e64 v27, v44, s60                                // 00000000313C: D134001B 0000792C
	s_and_b32 s86, s86, 0xffffff                               // 000000003144: 8656FF56 00FFFFFF
	s_mul_i32 s60, s86, s68                                    // 00000000314C: 923C4456
	v_add_u32_e64 v28, v44, s60                                // 000000003150: D134001C 0000792C
	s_and_b32 s87, s87, 0xffffff                               // 000000003158: 8657FF57 00FFFFFF
	s_mul_i32 s60, s87, s68                                    // 000000003160: 923C4457
	v_add_u32_e64 v29, v44, s60                                // 000000003164: D134001D 0000792C
	s_and_b32 s88, s88, 0xffffff                               // 00000000316C: 8658FF58 00FFFFFF
	s_mul_i32 s60, s88, s68                                    // 000000003174: 923C4458
	v_add_u32_e64 v30, v44, s60                                // 000000003178: D134001E 0000792C
	s_and_b32 s89, s89, 0xffffff                               // 000000003180: 8659FF59 00FFFFFF
	s_mul_i32 s60, s89, s68                                    // 000000003188: 923C4459
	v_add_u32_e64 v31, v44, s60                                // 00000000318C: D134001F 0000792C
	v_lshlrev_b32_e32 v44, 2, v0                               // 000000003194: 24580082
	s_mul_i32 s60, s82, s71                                    // 000000003198: 923C4752
	v_add_u32_e64 v80, v44, s60                                // 00000000319C: D1340050 0000792C
	v_mov_b32_e32 v81, 0                                       // 0000000031A4: 7EA20280
	s_mul_i32 s60, s83, s71                                    // 0000000031A8: 923C4753
	v_add_u32_e64 v82, v44, s60                                // 0000000031AC: D1340052 0000792C
	v_mov_b32_e32 v83, 0                                       // 0000000031B4: 7EA60280
	s_mul_i32 s60, s84, s71                                    // 0000000031B8: 923C4754
	v_add_u32_e64 v84, v44, s60                                // 0000000031BC: D1340054 0000792C
	v_mov_b32_e32 v85, 0                                       // 0000000031C4: 7EAA0280
	s_mul_i32 s60, s85, s71                                    // 0000000031C8: 923C4755
	v_add_u32_e64 v86, v44, s60                                // 0000000031CC: D1340056 0000792C
	v_mov_b32_e32 v87, 0                                       // 0000000031D4: 7EAE0280
	s_mul_i32 s60, s86, s71                                    // 0000000031D8: 923C4756
	v_add_u32_e64 v88, v44, s60                                // 0000000031DC: D1340058 0000792C
	v_mov_b32_e32 v89, 0                                       // 0000000031E4: 7EB20280
	s_mul_i32 s60, s87, s71                                    // 0000000031E8: 923C4757
	v_add_u32_e64 v90, v44, s60                                // 0000000031EC: D134005A 0000792C
	v_mov_b32_e32 v91, 0                                       // 0000000031F4: 7EB60280
	s_mul_i32 s60, s88, s71                                    // 0000000031F8: 923C4758
	v_add_u32_e64 v92, v44, s60                                // 0000000031FC: D134005C 0000792C
	v_mov_b32_e32 v93, 0                                       // 000000003204: 7EBA0280
	s_mul_i32 s60, s89, s71                                    // 000000003208: 923C4759
	v_add_u32_e64 v94, v44, s60                                // 00000000320C: D134005E 0000792C
	v_mov_b32_e32 v95, 0                                       // 000000003214: 7EBE0280
	s_mul_i32 s60, s7, 0x820                                   // 000000003218: 923CFF07 00000820
	s_add_u32 s50, 0, s60                                      // 000000003220: 80323C80
	s_add_u32 s51, 0x2080, s50                                 // 000000003224: 803332FF 00002080
	v_lshrrev_b32_e32 v44, 4, v0                               // 00000000322C: 20580084
	v_lshlrev_b32_e32 v45, 2, v44                              // 000000003230: 245A5882
	v_and_b32_e32 v44, 15, v0                                  // 000000003234: 2658008F
	v_lshrrev_b32_e32 v46, 2, v44                              // 000000003238: 205C5882
	v_lshlrev_b32_e32 v46, 6, v46                              // 00000000323C: 245C5C86
	v_add_u32_e32 v45, v46, v45                                // 000000003240: 685A5B2E
	v_and_b32_e32 v44, 3, v0                                   // 000000003244: 26580083
	v_mul_i32_i24_e32 v46, 0x208, v44                          // 000000003248: 0C5C58FF 00000208
	v_add_u32_e32 v45, v46, v45                                // 000000003250: 685A5B2E
	v_lshlrev_b32_e32 v2, 2, v45                               // 000000003254: 24045A82
	s_mul_i32 s60, s2, 0x80                                    // 000000003258: 923CFF02 00000080
	s_mul_i32 s60, s60, s69                                    // 000000003260: 923C453C
	s_mul_i32 s61, s5, s72                                     // 000000003264: 923D4805
	s_add_u32 s60, s61, s60                                    // 000000003268: 803C3C3D
	s_add_u32 s24, s60, s24                                    // 00000000326C: 8018183C
	s_addc_u32 s25, 0, s25                                     // 000000003270: 82191980
	s_mul_i32 s60, s7, 16                                      // 000000003274: 923C9007
	s_mul_i32 s60, s60, s69                                    // 000000003278: 923C453C
	v_lshlrev_b32_e32 v32, 4, v0                               // 00000000327C: 24400084
	v_add_u32_e32 v32, s60, v32                                // 000000003280: 6840403C
	s_mul_i32 s60, 64, s69                                     // 000000003284: 923C45C0
	v_add_u32_e32 v33, s60, v32                                // 000000003288: 6842403C
	s_mov_b32 s92, s24                                         // 00000000328C: BEDC0018
	s_mov_b32 s93, s25                                         // 000000003290: BEDD0019
	s_mov_b32 s94, s26                                         // 000000003294: BEDE001A
	s_mov_b32 s95, s27                                         // 000000003298: BEDF001B
	s_mul_i32 s60, s69, s65                                    // 00000000329C: 923C4145
	s_add_u32 s92, s60, s92                                    // 0000000032A0: 805C5C3C
	s_addc_u32 s93, 0, s93                                     // 0000000032A4: 825D5D80
	s_mul_i32 s60, s2, 0x800                                   // 0000000032A8: 923CFF02 00000800
	s_mul_i32 s61, s5, s73                                     // 0000000032B0: 923D4905
	s_add_u32 s60, s61, s60                                    // 0000000032B4: 803C3C3D
	s_add_u32 s12, s60, s12                                    // 0000000032B8: 800C0C3C
	s_addc_u32 s13, 0, s13                                     // 0000000032BC: 820D0D80
	s_mul_i32 s60, s7, 16                                      // 0000000032C0: 923C9007
	s_mul_i32 s60, s60, s70                                    // 0000000032C4: 923C463C
	v_lshlrev_b32_e32 v34, 4, v0                               // 0000000032C8: 24440084
	v_add_u32_e32 v34, s60, v34                                // 0000000032CC: 6844443C
	s_mul_i32 s60, 64, s70                                     // 0000000032D0: 923C46C0
	v_add_u32_e32 v35, s60, v34                                // 0000000032D4: 6846443C
	v_add_u32_e32 v36, s60, v35                                // 0000000032D8: 6848463C
	v_add_u32_e32 v37, s60, v36                                // 0000000032DC: 684A483C
	s_mul_i32 s60, s70, 0x100                                  // 0000000032E0: 923CFF46 00000100
	s_mov_b32 s78, 0x400                                       // 0000000032E8: BECE00FF 00000400
	s_mul_i32 s61, s78, 1                                      // 0000000032F0: 923D814E
	s_sub_u32 s56, s60, s61                                    // 0000000032F4: 80B83D3C
	s_mul_i32 s60, s3, 32                                      // 0000000032F8: 923CA003
	s_mul_i32 s60, 4, s60                                      // 0000000032FC: 923C3C84
	s_add_u32 s40, s60, s40                                    // 000000003300: 8028283C
	s_addc_u32 s41, 0, s41                                     // 000000003304: 82292980
	v_and_b32_e32 v44, 15, v0                                  // 000000003308: 2658008F
	v_lshlrev_b32_e32 v8, 2, v44                               // 00000000330C: 24105882
	v_add_u32_e32 v9, 64, v8                                   // 000000003310: 681210C0
	v_lshrrev_b32_e32 v44, 4, v0                               // 000000003314: 20580084
	v_lshlrev_b32_e32 v45, 2, v44                              // 000000003318: 245A5882
	v_and_b32_e32 v44, 15, v0                                  // 00000000331C: 2658008F
	v_lshrrev_b32_e32 v46, 2, v44                              // 000000003320: 205C5882
	v_lshlrev_b32_e32 v46, 6, v46                              // 000000003324: 245C5C86
	v_add_u32_e32 v45, v46, v45                                // 000000003328: 685A5B2E
	v_and_b32_e32 v44, 3, v0                                   // 00000000332C: 26580083
	v_add_u32_e32 v45, v44, v45                                // 000000003330: 685A5B2C
	v_lshlrev_b32_e32 v10, 2, v45                              // 000000003334: 24145A82
	v_add_u32_e32 v11, 0x400, v10                              // 000000003338: 681614FF 00000400
	s_mul_i32 s60, s7, 16                                      // 000000003340: 923C9007
	s_mul_i32 s60, s60, 4                                      // 000000003344: 923C843C
	v_add_u32_e32 v10, s60, v10                                // 000000003348: 6814143C
	v_add_u32_e32 v11, s60, v11                                // 00000000334C: 6816163C
	v_mov_b32_e32 v5, v10                                      // 000000003350: 7E0A030A
	s_mul_i32 s60, s2, 0x80                                    // 000000003354: 923CFF02 00000080
	s_mul_i32 s60, s60, 4                                      // 00000000335C: 923C843C
	s_mul_i32 s61, s5, s74                                     // 000000003360: 923D4A05
	s_add_u32 s61, s61, s60                                    // 000000003364: 803D3C3D
	s_mul_i32 s62, s5, s76                                     // 000000003368: 923E4C05
	s_add_u32 s62, s62, s60                                    // 00000000336C: 803E3C3E
	s_add_u32 s32, s61, s32                                    // 000000003370: 8020203D
	s_addc_u32 s33, 0, s33                                     // 000000003374: 82212180
	s_add_u32 s36, s62, s36                                    // 000000003378: 8024243E
	s_addc_u32 s37, 0, s37                                     // 00000000337C: 82252580
	s_mul_i32 s60, s5, s75                                     // 000000003380: 923C4B05
	s_add_u32 s16, s60, s16                                    // 000000003384: 8010103C
	s_addc_u32 s17, 0, s17                                     // 000000003388: 82111180
	s_mov_b32 s57, 0x100                                       // 00000000338C: BEB900FF 00000100
	s_mov_b32 s58, 0x1000                                      // 000000003394: BEBA00FF 00001000
	s_mov_b32 s79, 0x400                                       // 00000000339C: BECF00FF 00000400
	s_mov_b32 s59, 0x200                                       // 0000000033A4: BEBB00FF 00000200
	s_mov_b32 s90, s58                                         // 0000000033AC: BEDA003A
	s_mov_b32 s52, 0x7060302                                   // 0000000033B0: BEB400FF 07060302
	s_mov_b32 s53, 0x400                                       // 0000000033B8: BEB500FF 00000400
	s_mov_b32 s54, 0x40100                                     // 0000000033C0: BEB600FF 00040100
	s_mov_b32 s55, 0x4020100                                   // 0000000033C8: BEB700FF 04020100
	s_mov_b32 s6, 0x3fb8aa3b                                   // 0000000033D0: BE8600FF 3FB8AA3B
	s_mov_b32 s77, 0xbd92220c                                  // 0000000033D8: BECD00FF BD92220C
	s_mov_b32 m0, s50                                          // 0000000033E0: BEFC0032
	v_mov_b32_e32 v1, 0xbfcc4231                               // 0000000033E4: 7E0202FF BFCC4231
	v_mov_b32_e32 v39, 0xffff0000                              // 0000000033EC: 7E4E02FF FFFF0000
	v_mov_b32_e32 v40, 0x7fff0000                              // 0000000033F4: 7E5002FF 7FFF0000
	v_mov_b32_e32 v41, 0x7fff                                  // 0000000033FC: 7E5202FF 00007FFF
	s_waitcnt vmcnt(0) expcnt(0) lgkmcnt(0)                    // 000000003404: BF8C0000
	v_and_b32_e32 v6, 0xffffff, v6                             // 000000003408: 260C0CFF 00FFFFFF
	v_and_b32_e32 v7, 0xffffff, v7                             // 000000003410: 260E0EFF 00FFFFFF
	v_lshlrev_b32_e32 v6, 2, v6                                // 000000003418: 240C0C82
	v_lshlrev_b32_e32 v7, 2, v7                                // 00000000341C: 240E0E82
	buffer_load_dword v13, v6, s[28:31], 0 offen               // 000000003420: E0501000 80070D06
	buffer_load_dword v14, v7, s[28:31], 0 offen               // 000000003428: E0501000 80070E07
	buffer_load_dword v15, v10, s[32:35], 0 offen              // 000000003430: E0501000 80080F0A
	buffer_load_dword v16, v11, s[32:35], 0 offen              // 000000003438: E0501000 8008100B
	s_mul_i32 s60, 4, s65                                      // 000000003440: 923C4184
	s_add_u32 s32, s60, s32                                    // 000000003444: 8020203C
	s_addc_u32 s33, 0, s33                                     // 000000003448: 82212180
	buffer_load_dword v42, v10, s[32:35], 0 offen              // 00000000344C: E0501000 80082A0A
	buffer_load_dword v43, v11, s[32:35], 0 offen              // 000000003454: E0501000 80082B0B
	buffer_load_dword v17, v8, s[40:43], 0 offen               // 00000000345C: E0501000 800A1108
	buffer_load_dword v18, v9, s[40:43], 0 offen               // 000000003464: E0501000 800A1209
	buffer_load_dword v24, s[20:23], 0 offen lds               // 00000000346C: E0511000 80050018
	s_add_u32 m0, 0x100, s50                                   // 000000003474: 807C32FF 00000100
	buffer_load_dword v25, s[20:23], 0 offen lds               // 00000000347C: E0511000 80050019
	s_add_u32 m0, 0x200, s50                                   // 000000003484: 807C32FF 00000200
	buffer_load_dword v26, s[20:23], 0 offen lds               // 00000000348C: E0511000 8005001A
	s_add_u32 m0, 0x300, s50                                   // 000000003494: 807C32FF 00000300
	buffer_load_dword v27, s[20:23], 0 offen lds               // 00000000349C: E0511000 8005001B
	s_add_u32 m0, 0x400, s50                                   // 0000000034A4: 807C32FF 00000400
	buffer_load_dword v28, s[20:23], 0 offen lds               // 0000000034AC: E0511000 8005001C
	s_add_u32 m0, 0x500, s50                                   // 0000000034B4: 807C32FF 00000500
	buffer_load_dword v29, s[20:23], 0 offen lds               // 0000000034BC: E0511000 8005001D
	s_add_u32 m0, 0x600, s50                                   // 0000000034C4: 807C32FF 00000600
	buffer_load_dword v30, s[20:23], 0 offen lds               // 0000000034CC: E0511000 8005001E
	s_add_u32 m0, 0x700, s50                                   // 0000000034D4: 807C32FF 00000700
	buffer_load_dword v31, s[20:23], 0 offen lds               // 0000000034DC: E0511000 8005001F
	s_add_u32 m0, 0, s51                                       // 0000000034E4: 807C3380
	s_add_u32 s20, s57, s20                                    // 0000000034E8: 80141439
	s_addc_u32 s21, 0, s21                                     // 0000000034EC: 82151580
	buffer_load_dwordx4 a[0:3], v32, s[24:27], 0 offen         // 0000000034F0: E05C1000 80860020
	buffer_load_dwordx4 a[4:7], v32, s[24:27], 0 offen offset:1024// 0000000034F8: E05C1400 80860420
	buffer_load_dwordx4 a[8:11], v32, s[24:27], 0 offen offset:2048// 000000003500: E05C1800 80860820
	buffer_load_dwordx4 a[12:15], v32, s[24:27], 0 offen offset:3072// 000000003508: E05C1C00 80860C20
	buffer_load_dwordx4 a[16:19], v33, s[24:27], 0 offen       // 000000003510: E05C1000 80861021
	buffer_load_dwordx4 a[20:23], v33, s[24:27], 0 offen offset:1024// 000000003518: E05C1400 80861421
	buffer_load_dwordx4 a[24:27], v33, s[24:27], 0 offen offset:2048// 000000003520: E05C1800 80861821
	buffer_load_dwordx4 a[28:31], v33, s[24:27], 0 offen offset:3072// 000000003528: E05C1C00 80861C21
	s_add_u32 s24, s58, s24                                    // 000000003530: 8018183A
	s_addc_u32 s25, 0, s25                                     // 000000003534: 82191980
	v_mov_b32_e32 v128, 0                                      // 000000003538: 7F000280
	v_mov_b32_e32 v64, 0                                       // 00000000353C: 7E800280
	v_mov_b32_e32 v129, 0                                      // 000000003540: 7F020280
	v_mov_b32_e32 v65, 0                                       // 000000003544: 7E820280
	v_mov_b32_e32 v130, 0                                      // 000000003548: 7F040280
	v_mov_b32_e32 v66, 0                                       // 00000000354C: 7E840280
	v_mov_b32_e32 v131, 0                                      // 000000003550: 7F060280
	v_mov_b32_e32 v67, 0                                       // 000000003554: 7E860280
	v_mov_b32_e32 v132, 0                                      // 000000003558: 7F080280
	v_mov_b32_e32 v68, 0                                       // 00000000355C: 7E880280
	v_mov_b32_e32 v133, 0                                      // 000000003560: 7F0A0280
	v_mov_b32_e32 v69, 0                                       // 000000003564: 7E8A0280
	v_mov_b32_e32 v134, 0                                      // 000000003568: 7F0C0280
	v_mov_b32_e32 v70, 0                                       // 00000000356C: 7E8C0280
	v_mov_b32_e32 v135, 0                                      // 000000003570: 7F0E0280
	v_mov_b32_e32 v71, 0                                       // 000000003574: 7E8E0280
	v_mov_b32_e32 v136, 0                                      // 000000003578: 7F100280
	v_mov_b32_e32 v72, 0                                       // 00000000357C: 7E900280
	v_mov_b32_e32 v137, 0                                      // 000000003580: 7F120280
	v_mov_b32_e32 v73, 0                                       // 000000003584: 7E920280
	v_mov_b32_e32 v138, 0                                      // 000000003588: 7F140280
	v_mov_b32_e32 v74, 0                                       // 00000000358C: 7E940280
	v_mov_b32_e32 v139, 0                                      // 000000003590: 7F160280
	v_mov_b32_e32 v75, 0                                       // 000000003594: 7E960280
	v_mov_b32_e32 v140, 0                                      // 000000003598: 7F180280
	v_mov_b32_e32 v76, 0                                       // 00000000359C: 7E980280
	v_mov_b32_e32 v141, 0                                      // 0000000035A0: 7F1A0280
	v_mov_b32_e32 v77, 0                                       // 0000000035A4: 7E9A0280
	v_mov_b32_e32 v142, 0                                      // 0000000035A8: 7F1C0280
	v_mov_b32_e32 v78, 0                                       // 0000000035AC: 7E9C0280
	v_mov_b32_e32 v143, 0                                      // 0000000035B0: 7F1E0280
	v_mov_b32_e32 v79, 0                                       // 0000000035B4: 7E9E0280
	v_lshrrev_b32_e32 v44, 4, v0                               // 0000000035B8: 20580084
	v_mul_i32_i24_e32 v3, 34, v44                              // 0000000035BC: 0C0658A2
	v_and_b32_e32 v44, 15, v0                                  // 0000000035C0: 2658008F
	v_mul_i32_i24_e32 v45, 2, v44                              // 0000000035C4: 0C5A5882
	v_add_u32_e32 v3, v45, v3                                  // 0000000035C8: 6806072D
	s_mul_i32 s60, s7, 0x88                                    // 0000000035CC: 923CFF07 00000088
	v_add_u32_e32 v3, s60, v3                                  // 0000000035D4: 6806063C
	v_lshlrev_b32_e32 v3, 2, v3                                // 0000000035D8: 24060682
	v_lshrrev_b32_e32 v44, 1, v0                               // 0000000035DC: 20580081
	v_mul_i32_i24_e32 v4, 34, v44                              // 0000000035E0: 0C0858A2
	v_and_b32_e32 v45, 1, v0                                   // 0000000035E4: 265A0081
	v_add_u32_e32 v4, v45, v4                                  // 0000000035E8: 6808092D
	s_mul_i32 s60, s7, 2                                       // 0000000035EC: 923C8207
	v_add_u32_e32 v4, s60, v4                                  // 0000000035F0: 6808083C
	v_lshlrev_b32_e32 v4, 2, v4                                // 0000000035F4: 24080882
	s_waitcnt vmcnt(8)                                         // 0000000035F8: BF8C0F78
	s_barrier                                                  // 0000000035FC: BF8A0000
	ds_read_b128 v[144:147], v2                                // 000000003600: D9FE0000 90000002
	ds_read_b128 v[148:151], v2 offset:64                      // 000000003608: D9FE0040 94000002
	ds_read_b128 v[152:155], v2 offset:128                     // 000000003610: D9FE0080 98000002
	ds_read_b128 v[156:159], v2 offset:192                     // 000000003618: D9FE00C0 9C000002
	ds_read_b128 v[160:163], v2 offset:1024                    // 000000003620: D9FE0400 A0000002
	ds_read_b128 v[164:167], v2 offset:1088                    // 000000003628: D9FE0440 A4000002
	ds_read_b128 v[168:171], v2 offset:1152                    // 000000003630: D9FE0480 A8000002
	ds_read_b128 v[172:175], v2 offset:1216                    // 000000003638: D9FE04C0 AC000002
	s_cmp_lt_i32 s7, 2                                         // 000000003640: BF048207
	s_cbranch_scc0 label_0895                                  // 000000003644: BF840683

0000000000003648 <label_0212>:
	s_waitcnt vmcnt(0) lgkmcnt(0)                              // 000000003648: BF8C0070
	s_barrier                                                  // 00000000364C: BF8A0000
	v_mfma_f32_16x16x32_fp8_fp8 v[128:131], a[0:1], v[144:145], v[128:131]// 000000003650: D3F30080 0E032100
	v_mfma_f32_16x16x32_fp8_fp8 v[128:131], a[2:3], v[146:147], v[128:131]// 000000003658: D3F30080 0E032502
	buffer_load_dwordx4 a[32:35], v32, s[92:95], 0 offen       // 000000003660: E05C1000 80972020
	v_mfma_f32_16x16x32_fp8_fp8 v[128:131], a[4:5], v[148:149], v[128:131]// 000000003668: D3F30080 0E032904
	v_mfma_f32_16x16x32_fp8_fp8 v[128:131], a[6:7], v[150:151], v[128:131]// 000000003670: D3F30080 0E032D06
	buffer_load_dword v24, s[20:23], 0 offen lds               // 000000003678: E0511000 80050018
	s_add_u32 m0, 0x100, s51                                   // 000000003680: 807C33FF 00000100
	v_mfma_f32_16x16x32_fp8_fp8 v[128:131], a[8:9], v[152:153], v[128:131]// 000000003688: D3F30080 0E033108
	v_mfma_f32_16x16x32_fp8_fp8 v[128:131], a[10:11], v[154:155], v[128:131]// 000000003690: D3F30080 0E03350A
	buffer_load_dwordx4 a[36:39], v32, s[92:95], 0 offen offset:1024// 000000003698: E05C1400 80972420
	v_mfma_f32_16x16x32_fp8_fp8 v[128:131], a[12:13], v[156:157], v[128:131]// 0000000036A0: D3F30080 0E03390C
	v_mfma_f32_16x16x32_fp8_fp8 v[128:131], a[14:15], v[158:159], v[128:131]// 0000000036A8: D3F30080 0E033D0E
	buffer_load_dword v25, s[20:23], 0 offen lds               // 0000000036B0: E0511000 80050019
	s_add_u32 m0, 0x200, s51                                   // 0000000036B8: 807C33FF 00000200
	v_mfma_f32_16x16x32_fp8_fp8 v[132:135], a[0:1], v[160:161], v[132:135]// 0000000036C0: D3F30084 0E134100
	v_mfma_f32_16x16x32_fp8_fp8 v[132:135], a[2:3], v[162:163], v[132:135]// 0000000036C8: D3F30084 0E134502
	buffer_load_dwordx4 a[40:43], v32, s[92:95], 0 offen offset:2048// 0000000036D0: E05C1800 80972820
	v_mfma_f32_16x16x32_fp8_fp8 v[132:135], a[4:5], v[164:165], v[132:135]// 0000000036D8: D3F30084 0E134904
	v_mfma_f32_16x16x32_fp8_fp8 v[132:135], a[6:7], v[166:167], v[132:135]// 0000000036E0: D3F30084 0E134D06
	buffer_load_dword v26, s[20:23], 0 offen lds               // 0000000036E8: E0511000 8005001A
	s_add_u32 m0, 0x300, s51                                   // 0000000036F0: 807C33FF 00000300
	v_mfma_f32_16x16x32_fp8_fp8 v[132:135], a[8:9], v[168:169], v[132:135]// 0000000036F8: D3F30084 0E135108
	v_mfma_f32_16x16x32_fp8_fp8 v[132:135], a[10:11], v[170:171], v[132:135]// 000000003700: D3F30084 0E13550A
	buffer_load_dwordx4 a[44:47], v32, s[92:95], 0 offen offset:3072// 000000003708: E05C1C00 80972C20
	v_mfma_f32_16x16x32_fp8_fp8 v[132:135], a[12:13], v[172:173], v[132:135]// 000000003710: D3F30084 0E13590C
	v_mfma_f32_16x16x32_fp8_fp8 v[132:135], a[14:15], v[174:175], v[132:135]// 000000003718: D3F30084 0E135D0E
	buffer_load_dword v27, s[20:23], 0 offen lds               // 000000003720: E0511000 8005001B
	s_add_u32 m0, 0x400, s51                                   // 000000003728: 807C33FF 00000400
	v_mfma_f32_16x16x32_fp8_fp8 v[136:139], a[16:17], v[144:145], v[136:139]// 000000003730: D3F30088 0E232110
	v_mfma_f32_16x16x32_fp8_fp8 v[136:139], a[18:19], v[146:147], v[136:139]// 000000003738: D3F30088 0E232512
	buffer_load_dwordx4 a[48:51], v33, s[92:95], 0 offen       // 000000003740: E05C1000 80973021
	v_mfma_f32_16x16x32_fp8_fp8 v[136:139], a[20:21], v[148:149], v[136:139]// 000000003748: D3F30088 0E232914
	v_mfma_f32_16x16x32_fp8_fp8 v[136:139], a[22:23], v[150:151], v[136:139]// 000000003750: D3F30088 0E232D16
	buffer_load_dword v28, s[20:23], 0 offen lds               // 000000003758: E0511000 8005001C
	s_add_u32 m0, 0x500, s51                                   // 000000003760: 807C33FF 00000500
	v_mfma_f32_16x16x32_fp8_fp8 v[136:139], a[24:25], v[152:153], v[136:139]// 000000003768: D3F30088 0E233118
	v_mfma_f32_16x16x32_fp8_fp8 v[136:139], a[26:27], v[154:155], v[136:139]// 000000003770: D3F30088 0E23351A
	buffer_load_dwordx4 a[52:55], v33, s[92:95], 0 offen offset:1024// 000000003778: E05C1400 80973421
	v_mfma_f32_16x16x32_fp8_fp8 v[136:139], a[28:29], v[156:157], v[136:139]// 000000003780: D3F30088 0E23391C
	v_mfma_f32_16x16x32_fp8_fp8 v[136:139], a[30:31], v[158:159], v[136:139]// 000000003788: D3F30088 0E233D1E
	buffer_load_dword v29, s[20:23], 0 offen lds               // 000000003790: E0511000 8005001D
	s_add_u32 m0, 0x600, s51                                   // 000000003798: 807C33FF 00000600
	v_mfma_f32_16x16x32_fp8_fp8 v[140:143], a[16:17], v[160:161], v[140:143]// 0000000037A0: D3F3008C 0E334110
	v_mfma_f32_16x16x32_fp8_fp8 v[140:143], a[18:19], v[162:163], v[140:143]// 0000000037A8: D3F3008C 0E334512
	buffer_load_dwordx4 a[56:59], v33, s[92:95], 0 offen offset:2048// 0000000037B0: E05C1800 80973821
	v_mfma_f32_16x16x32_fp8_fp8 v[140:143], a[20:21], v[164:165], v[140:143]// 0000000037B8: D3F3008C 0E334914
	v_mfma_f32_16x16x32_fp8_fp8 v[140:143], a[22:23], v[166:167], v[140:143]// 0000000037C0: D3F3008C 0E334D16
	buffer_load_dword v30, s[20:23], 0 offen lds               // 0000000037C8: E0511000 8005001E
	s_add_u32 m0, 0x700, s51                                   // 0000000037D0: 807C33FF 00000700
	v_mfma_f32_16x16x32_fp8_fp8 v[140:143], a[24:25], v[168:169], v[140:143]// 0000000037D8: D3F3008C 0E335118
	v_mfma_f32_16x16x32_fp8_fp8 v[140:143], a[26:27], v[170:171], v[140:143]// 0000000037E0: D3F3008C 0E33551A
	buffer_load_dwordx4 a[60:63], v33, s[92:95], 0 offen offset:3072// 0000000037E8: E05C1C00 80973C21
	v_mfma_f32_16x16x32_fp8_fp8 v[140:143], a[28:29], v[172:173], v[140:143]// 0000000037F0: D3F3008C 0E33591C
	v_mfma_f32_16x16x32_fp8_fp8 v[140:143], a[30:31], v[174:175], v[140:143]// 0000000037F8: D3F3008C 0E335D1E
	buffer_load_dword v31, s[20:23], 0 offen lds               // 000000003800: E0511000 8005001F
	s_add_u32 m0, 0, s50                                       // 000000003808: 807C3280
	s_waitcnt vmcnt(0)                                         // 00000000380C: BF8C0F70
	s_barrier                                                  // 000000003810: BF8A0000
	v_mfma_f32_16x16x32_fp8_fp8 v[64:67], a[32:33], v[144:145], v[64:67]// 000000003814: D3F30040 0D032120
	v_mfma_f32_16x16x32_fp8_fp8 v[64:67], a[34:35], v[146:147], v[64:67]// 00000000381C: D3F30040 0D032522
	buffer_load_dwordx4 a[0:3], v32, s[24:27], 0 offen         // 000000003824: E05C1000 80860020
	v_mfma_f32_16x16x32_fp8_fp8 v[64:67], a[36:37], v[148:149], v[64:67]// 00000000382C: D3F30040 0D032924
	v_mfma_f32_16x16x32_fp8_fp8 v[64:67], a[38:39], v[150:151], v[64:67]// 000000003834: D3F30040 0D032D26
	ds_read_b128 v[176:179], v2 offset:8320                    // 00000000383C: D9FE2080 B0000002
	v_mfma_f32_16x16x32_fp8_fp8 v[64:67], a[40:41], v[152:153], v[64:67]// 000000003844: D3F30040 0D033128
	v_mfma_f32_16x16x32_fp8_fp8 v[64:67], a[42:43], v[154:155], v[64:67]// 00000000384C: D3F30040 0D03352A
	buffer_load_dwordx4 a[4:7], v32, s[24:27], 0 offen offset:1024// 000000003854: E05C1400 80860420
	v_mfma_f32_16x16x32_fp8_fp8 v[64:67], a[44:45], v[156:157], v[64:67]// 00000000385C: D3F30040 0D03392C
	v_mfma_f32_16x16x32_fp8_fp8 v[64:67], a[46:47], v[158:159], v[64:67]// 000000003864: D3F30040 0D033D2E
	ds_read_b128 v[180:183], v2 offset:8384                    // 00000000386C: D9FE20C0 B4000002
	v_mfma_f32_16x16x32_fp8_fp8 v[68:71], a[32:33], v[160:161], v[68:71]// 000000003874: D3F30044 0D134120
	v_mfma_f32_16x16x32_fp8_fp8 v[68:71], a[34:35], v[162:163], v[68:71]// 00000000387C: D3F30044 0D134522
	buffer_load_dwordx4 a[8:11], v32, s[24:27], 0 offen offset:2048// 000000003884: E05C1800 80860820
	v_mfma_f32_16x16x32_fp8_fp8 v[68:71], a[36:37], v[164:165], v[68:71]// 00000000388C: D3F30044 0D134924
	v_mfma_f32_16x16x32_fp8_fp8 v[68:71], a[38:39], v[166:167], v[68:71]// 000000003894: D3F30044 0D134D26
	ds_read_b128 v[184:187], v2 offset:8448                    // 00000000389C: D9FE2100 B8000002
	v_mfma_f32_16x16x32_fp8_fp8 v[68:71], a[40:41], v[168:169], v[68:71]// 0000000038A4: D3F30044 0D135128
	v_mfma_f32_16x16x32_fp8_fp8 v[68:71], a[42:43], v[170:171], v[68:71]// 0000000038AC: D3F30044 0D13552A
	buffer_load_dwordx4 a[12:15], v32, s[24:27], 0 offen offset:3072// 0000000038B4: E05C1C00 80860C20
	v_mfma_f32_16x16x32_fp8_fp8 v[68:71], a[44:45], v[172:173], v[68:71]// 0000000038BC: D3F30044 0D13592C
	v_mfma_f32_16x16x32_fp8_fp8 v[68:71], a[46:47], v[174:175], v[68:71]// 0000000038C4: D3F30044 0D135D2E
	ds_read_b128 v[188:191], v2 offset:8512                    // 0000000038CC: D9FE2140 BC000002
	v_mfma_f32_16x16x32_fp8_fp8 v[72:75], a[48:49], v[144:145], v[72:75]// 0000000038D4: D3F30048 0D232130
	v_mfma_f32_16x16x32_fp8_fp8 v[72:75], a[50:51], v[146:147], v[72:75]// 0000000038DC: D3F30048 0D232532
	buffer_load_dwordx4 a[16:19], v33, s[24:27], 0 offen       // 0000000038E4: E05C1000 80861021
	v_mfma_f32_16x16x32_fp8_fp8 v[72:75], a[52:53], v[148:149], v[72:75]// 0000000038EC: D3F30048 0D232934
	v_mfma_f32_16x16x32_fp8_fp8 v[72:75], a[54:55], v[150:151], v[72:75]// 0000000038F4: D3F30048 0D232D36
	ds_read_b128 v[192:195], v2 offset:9344                    // 0000000038FC: D9FE2480 C0000002
	v_mfma_f32_16x16x32_fp8_fp8 v[72:75], a[56:57], v[152:153], v[72:75]// 000000003904: D3F30048 0D233138
	v_mfma_f32_16x16x32_fp8_fp8 v[72:75], a[58:59], v[154:155], v[72:75]// 00000000390C: D3F30048 0D23353A
	buffer_load_dwordx4 a[20:23], v33, s[24:27], 0 offen offset:1024// 000000003914: E05C1400 80861421
	v_mfma_f32_16x16x32_fp8_fp8 v[72:75], a[60:61], v[156:157], v[72:75]// 00000000391C: D3F30048 0D23393C
	v_mfma_f32_16x16x32_fp8_fp8 v[72:75], a[62:63], v[158:159], v[72:75]// 000000003924: D3F30048 0D233D3E
	ds_read_b128 v[196:199], v2 offset:9408                    // 00000000392C: D9FE24C0 C4000002
	v_mfma_f32_16x16x32_fp8_fp8 v[76:79], a[48:49], v[160:161], v[76:79]// 000000003934: D3F3004C 0D334130
	v_mfma_f32_16x16x32_fp8_fp8 v[76:79], a[50:51], v[162:163], v[76:79]// 00000000393C: D3F3004C 0D334532
	buffer_load_dwordx4 a[24:27], v33, s[24:27], 0 offen offset:2048// 000000003944: E05C1800 80861821
	v_mfma_f32_16x16x32_fp8_fp8 v[76:79], a[52:53], v[164:165], v[76:79]// 00000000394C: D3F3004C 0D334934
	v_mfma_f32_16x16x32_fp8_fp8 v[76:79], a[54:55], v[166:167], v[76:79]// 000000003954: D3F3004C 0D334D36
	ds_read_b128 v[200:203], v2 offset:9472                    // 00000000395C: D9FE2500 C8000002
	v_mfma_f32_16x16x32_fp8_fp8 v[76:79], a[56:57], v[168:169], v[76:79]// 000000003964: D3F3004C 0D335138
	v_mfma_f32_16x16x32_fp8_fp8 v[76:79], a[58:59], v[170:171], v[76:79]// 00000000396C: D3F3004C 0D33553A
	buffer_load_dwordx4 a[28:31], v33, s[24:27], 0 offen offset:3072// 000000003974: E05C1C00 80861C21
	v_mfma_f32_16x16x32_fp8_fp8 v[76:79], a[60:61], v[172:173], v[76:79]// 00000000397C: D3F3004C 0D33593C
	v_mfma_f32_16x16x32_fp8_fp8 v[76:79], a[62:63], v[174:175], v[76:79]// 000000003984: D3F3004C 0D335D3E
	ds_read_b128 v[204:207], v2 offset:9536                    // 00000000398C: D9FE2540 CC000002
	s_add_u32 s60, 0x200, s80                                  // 000000003994: 803C50FF 00000200
	s_cmp_lt_u32 s60, s81                                      // 00000000399C: BF0A513C
	s_cselect_b32 s57, s57, 0                                  // 0000000039A0: 85398039
	s_add_u32 s60, 0x200, s80                                  // 0000000039A4: 803C50FF 00000200
	s_cmp_lt_u32 s60, s81                                      // 0000000039AC: BF0A513C
	s_cselect_b32 s58, s58, 0                                  // 0000000039B0: 853A803A
	s_add_u32 s20, s57, s20                                    // 0000000039B4: 80141439
	s_addc_u32 s21, 0, s21                                     // 0000000039B8: 82151580
	s_add_u32 s24, s58, s24                                    // 0000000039BC: 8018183A
	s_addc_u32 s25, 0, s25                                     // 0000000039C0: 82191980
	s_add_u32 s92, s90, s92                                    // 0000000039C4: 805C5C5A
	s_addc_u32 s93, 0, s93                                     // 0000000039C8: 825D5D80
	s_addk_i32 s80, 0x100                                      // 0000000039CC: B7500100
	s_cmp_lt_i32 s80, s81                                      // 0000000039D0: BF045150
	s_cbranch_scc0 label_03DB                                  // 0000000039D4: BF8400E5
	s_waitcnt vmcnt(0) lgkmcnt(0)                              // 0000000039D8: BF8C0070
	s_barrier                                                  // 0000000039DC: BF8A0000
	v_mfma_f32_16x16x32_fp8_fp8 v[128:131], a[0:1], v[176:177], v[128:131]// 0000000039E0: D3F30080 0E036100
	v_mfma_f32_16x16x32_fp8_fp8 v[128:131], a[2:3], v[178:179], v[128:131]// 0000000039E8: D3F30080 0E036502
	buffer_load_dwordx4 a[32:35], v32, s[92:95], 0 offen       // 0000000039F0: E05C1000 80972020
	v_mfma_f32_16x16x32_fp8_fp8 v[128:131], a[4:5], v[180:181], v[128:131]// 0000000039F8: D3F30080 0E036904
	v_mfma_f32_16x16x32_fp8_fp8 v[128:131], a[6:7], v[182:183], v[128:131]// 000000003A00: D3F30080 0E036D06
	buffer_load_dword v24, s[20:23], 0 offen lds               // 000000003A08: E0511000 80050018
	s_add_u32 m0, 0x100, s50                                   // 000000003A10: 807C32FF 00000100
	v_mfma_f32_16x16x32_fp8_fp8 v[128:131], a[8:9], v[184:185], v[128:131]// 000000003A18: D3F30080 0E037108
	v_mfma_f32_16x16x32_fp8_fp8 v[128:131], a[10:11], v[186:187], v[128:131]// 000000003A20: D3F30080 0E03750A
	buffer_load_dwordx4 a[36:39], v32, s[92:95], 0 offen offset:1024// 000000003A28: E05C1400 80972420
	v_mfma_f32_16x16x32_fp8_fp8 v[128:131], a[12:13], v[188:189], v[128:131]// 000000003A30: D3F30080 0E03790C
	v_mfma_f32_16x16x32_fp8_fp8 v[128:131], a[14:15], v[190:191], v[128:131]// 000000003A38: D3F30080 0E037D0E
	buffer_load_dword v25, s[20:23], 0 offen lds               // 000000003A40: E0511000 80050019
	s_add_u32 m0, 0x200, s50                                   // 000000003A48: 807C32FF 00000200
	v_mfma_f32_16x16x32_fp8_fp8 v[132:135], a[0:1], v[192:193], v[132:135]// 000000003A50: D3F30084 0E138100
	v_mfma_f32_16x16x32_fp8_fp8 v[132:135], a[2:3], v[194:195], v[132:135]// 000000003A58: D3F30084 0E138502
	buffer_load_dwordx4 a[40:43], v32, s[92:95], 0 offen offset:2048// 000000003A60: E05C1800 80972820
	v_mfma_f32_16x16x32_fp8_fp8 v[132:135], a[4:5], v[196:197], v[132:135]// 000000003A68: D3F30084 0E138904
	v_mfma_f32_16x16x32_fp8_fp8 v[132:135], a[6:7], v[198:199], v[132:135]// 000000003A70: D3F30084 0E138D06
	buffer_load_dword v26, s[20:23], 0 offen lds               // 000000003A78: E0511000 8005001A
	s_add_u32 m0, 0x300, s50                                   // 000000003A80: 807C32FF 00000300
	v_mfma_f32_16x16x32_fp8_fp8 v[132:135], a[8:9], v[200:201], v[132:135]// 000000003A88: D3F30084 0E139108
	v_mfma_f32_16x16x32_fp8_fp8 v[132:135], a[10:11], v[202:203], v[132:135]// 000000003A90: D3F30084 0E13950A
	buffer_load_dwordx4 a[44:47], v32, s[92:95], 0 offen offset:3072// 000000003A98: E05C1C00 80972C20
	v_mfma_f32_16x16x32_fp8_fp8 v[132:135], a[12:13], v[204:205], v[132:135]// 000000003AA0: D3F30084 0E13990C
	v_mfma_f32_16x16x32_fp8_fp8 v[132:135], a[14:15], v[206:207], v[132:135]// 000000003AA8: D3F30084 0E139D0E
	buffer_load_dword v27, s[20:23], 0 offen lds               // 000000003AB0: E0511000 8005001B
	s_add_u32 m0, 0x400, s50                                   // 000000003AB8: 807C32FF 00000400
	v_mfma_f32_16x16x32_fp8_fp8 v[136:139], a[16:17], v[176:177], v[136:139]// 000000003AC0: D3F30088 0E236110
	v_mfma_f32_16x16x32_fp8_fp8 v[136:139], a[18:19], v[178:179], v[136:139]// 000000003AC8: D3F30088 0E236512
	buffer_load_dwordx4 a[48:51], v33, s[92:95], 0 offen       // 000000003AD0: E05C1000 80973021
	v_mfma_f32_16x16x32_fp8_fp8 v[136:139], a[20:21], v[180:181], v[136:139]// 000000003AD8: D3F30088 0E236914
	v_mfma_f32_16x16x32_fp8_fp8 v[136:139], a[22:23], v[182:183], v[136:139]// 000000003AE0: D3F30088 0E236D16
	buffer_load_dword v28, s[20:23], 0 offen lds               // 000000003AE8: E0511000 8005001C
	s_add_u32 m0, 0x500, s50                                   // 000000003AF0: 807C32FF 00000500
	v_mfma_f32_16x16x32_fp8_fp8 v[136:139], a[24:25], v[184:185], v[136:139]// 000000003AF8: D3F30088 0E237118
	v_mfma_f32_16x16x32_fp8_fp8 v[136:139], a[26:27], v[186:187], v[136:139]// 000000003B00: D3F30088 0E23751A
	buffer_load_dwordx4 a[52:55], v33, s[92:95], 0 offen offset:1024// 000000003B08: E05C1400 80973421
	v_mfma_f32_16x16x32_fp8_fp8 v[136:139], a[28:29], v[188:189], v[136:139]// 000000003B10: D3F30088 0E23791C
	v_mfma_f32_16x16x32_fp8_fp8 v[136:139], a[30:31], v[190:191], v[136:139]// 000000003B18: D3F30088 0E237D1E
	buffer_load_dword v29, s[20:23], 0 offen lds               // 000000003B20: E0511000 8005001D
	s_add_u32 m0, 0x600, s50                                   // 000000003B28: 807C32FF 00000600
	v_mfma_f32_16x16x32_fp8_fp8 v[140:143], a[16:17], v[192:193], v[140:143]// 000000003B30: D3F3008C 0E338110
	v_mfma_f32_16x16x32_fp8_fp8 v[140:143], a[18:19], v[194:195], v[140:143]// 000000003B38: D3F3008C 0E338512
	buffer_load_dwordx4 a[56:59], v33, s[92:95], 0 offen offset:2048// 000000003B40: E05C1800 80973821
	v_mfma_f32_16x16x32_fp8_fp8 v[140:143], a[20:21], v[196:197], v[140:143]// 000000003B48: D3F3008C 0E338914
	v_mfma_f32_16x16x32_fp8_fp8 v[140:143], a[22:23], v[198:199], v[140:143]// 000000003B50: D3F3008C 0E338D16
	buffer_load_dword v30, s[20:23], 0 offen lds               // 000000003B58: E0511000 8005001E
	s_add_u32 m0, 0x700, s50                                   // 000000003B60: 807C32FF 00000700
	v_mfma_f32_16x16x32_fp8_fp8 v[140:143], a[24:25], v[200:201], v[140:143]// 000000003B68: D3F3008C 0E339118
	v_mfma_f32_16x16x32_fp8_fp8 v[140:143], a[26:27], v[202:203], v[140:143]// 000000003B70: D3F3008C 0E33951A
	buffer_load_dwordx4 a[60:63], v33, s[92:95], 0 offen offset:3072// 000000003B78: E05C1C00 80973C21
	v_mfma_f32_16x16x32_fp8_fp8 v[140:143], a[28:29], v[204:205], v[140:143]// 000000003B80: D3F3008C 0E33991C
	v_mfma_f32_16x16x32_fp8_fp8 v[140:143], a[30:31], v[206:207], v[140:143]// 000000003B88: D3F3008C 0E339D1E
	buffer_load_dword v31, s[20:23], 0 offen lds               // 000000003B90: E0511000 8005001F
	s_add_u32 m0, 0, s51                                       // 000000003B98: 807C3380
	s_waitcnt vmcnt(0)                                         // 000000003B9C: BF8C0F70
	s_barrier                                                  // 000000003BA0: BF8A0000
	v_mfma_f32_16x16x32_fp8_fp8 v[64:67], a[32:33], v[176:177], v[64:67]// 000000003BA4: D3F30040 0D036120
	v_mfma_f32_16x16x32_fp8_fp8 v[64:67], a[34:35], v[178:179], v[64:67]// 000000003BAC: D3F30040 0D036522
	buffer_load_dwordx4 a[0:3], v32, s[24:27], 0 offen         // 000000003BB4: E05C1000 80860020
	v_mfma_f32_16x16x32_fp8_fp8 v[64:67], a[36:37], v[180:181], v[64:67]// 000000003BBC: D3F30040 0D036924
	v_mfma_f32_16x16x32_fp8_fp8 v[64:67], a[38:39], v[182:183], v[64:67]// 000000003BC4: D3F30040 0D036D26
	ds_read_b128 v[144:147], v2                                // 000000003BCC: D9FE0000 90000002
	v_mfma_f32_16x16x32_fp8_fp8 v[64:67], a[40:41], v[184:185], v[64:67]// 000000003BD4: D3F30040 0D037128
	v_mfma_f32_16x16x32_fp8_fp8 v[64:67], a[42:43], v[186:187], v[64:67]// 000000003BDC: D3F30040 0D03752A
	buffer_load_dwordx4 a[4:7], v32, s[24:27], 0 offen offset:1024// 000000003BE4: E05C1400 80860420
	v_mfma_f32_16x16x32_fp8_fp8 v[64:67], a[44:45], v[188:189], v[64:67]// 000000003BEC: D3F30040 0D03792C
	v_mfma_f32_16x16x32_fp8_fp8 v[64:67], a[46:47], v[190:191], v[64:67]// 000000003BF4: D3F30040 0D037D2E
	ds_read_b128 v[148:151], v2 offset:64                      // 000000003BFC: D9FE0040 94000002
	v_mfma_f32_16x16x32_fp8_fp8 v[68:71], a[32:33], v[192:193], v[68:71]// 000000003C04: D3F30044 0D138120
	v_mfma_f32_16x16x32_fp8_fp8 v[68:71], a[34:35], v[194:195], v[68:71]// 000000003C0C: D3F30044 0D138522
	buffer_load_dwordx4 a[8:11], v32, s[24:27], 0 offen offset:2048// 000000003C14: E05C1800 80860820
	v_mfma_f32_16x16x32_fp8_fp8 v[68:71], a[36:37], v[196:197], v[68:71]// 000000003C1C: D3F30044 0D138924
	v_mfma_f32_16x16x32_fp8_fp8 v[68:71], a[38:39], v[198:199], v[68:71]// 000000003C24: D3F30044 0D138D26
	ds_read_b128 v[152:155], v2 offset:128                     // 000000003C2C: D9FE0080 98000002
	v_mfma_f32_16x16x32_fp8_fp8 v[68:71], a[40:41], v[200:201], v[68:71]// 000000003C34: D3F30044 0D139128
	v_mfma_f32_16x16x32_fp8_fp8 v[68:71], a[42:43], v[202:203], v[68:71]// 000000003C3C: D3F30044 0D13952A
	buffer_load_dwordx4 a[12:15], v32, s[24:27], 0 offen offset:3072// 000000003C44: E05C1C00 80860C20
	v_mfma_f32_16x16x32_fp8_fp8 v[68:71], a[44:45], v[204:205], v[68:71]// 000000003C4C: D3F30044 0D13992C
	v_mfma_f32_16x16x32_fp8_fp8 v[68:71], a[46:47], v[206:207], v[68:71]// 000000003C54: D3F30044 0D139D2E
	ds_read_b128 v[156:159], v2 offset:192                     // 000000003C5C: D9FE00C0 9C000002
	v_mfma_f32_16x16x32_fp8_fp8 v[72:75], a[48:49], v[176:177], v[72:75]// 000000003C64: D3F30048 0D236130
	v_mfma_f32_16x16x32_fp8_fp8 v[72:75], a[50:51], v[178:179], v[72:75]// 000000003C6C: D3F30048 0D236532
	buffer_load_dwordx4 a[16:19], v33, s[24:27], 0 offen       // 000000003C74: E05C1000 80861021
	v_mfma_f32_16x16x32_fp8_fp8 v[72:75], a[52:53], v[180:181], v[72:75]// 000000003C7C: D3F30048 0D236934
	v_mfma_f32_16x16x32_fp8_fp8 v[72:75], a[54:55], v[182:183], v[72:75]// 000000003C84: D3F30048 0D236D36
	ds_read_b128 v[160:163], v2 offset:1024                    // 000000003C8C: D9FE0400 A0000002
	v_mfma_f32_16x16x32_fp8_fp8 v[72:75], a[56:57], v[184:185], v[72:75]// 000000003C94: D3F30048 0D237138
	v_mfma_f32_16x16x32_fp8_fp8 v[72:75], a[58:59], v[186:187], v[72:75]// 000000003C9C: D3F30048 0D23753A
	buffer_load_dwordx4 a[20:23], v33, s[24:27], 0 offen offset:1024// 000000003CA4: E05C1400 80861421
	v_mfma_f32_16x16x32_fp8_fp8 v[72:75], a[60:61], v[188:189], v[72:75]// 000000003CAC: D3F30048 0D23793C
	v_mfma_f32_16x16x32_fp8_fp8 v[72:75], a[62:63], v[190:191], v[72:75]// 000000003CB4: D3F30048 0D237D3E
	ds_read_b128 v[164:167], v2 offset:1088                    // 000000003CBC: D9FE0440 A4000002
	v_mfma_f32_16x16x32_fp8_fp8 v[76:79], a[48:49], v[192:193], v[76:79]// 000000003CC4: D3F3004C 0D338130
	v_mfma_f32_16x16x32_fp8_fp8 v[76:79], a[50:51], v[194:195], v[76:79]// 000000003CCC: D3F3004C 0D338532
	buffer_load_dwordx4 a[24:27], v33, s[24:27], 0 offen offset:2048// 000000003CD4: E05C1800 80861821
	v_mfma_f32_16x16x32_fp8_fp8 v[76:79], a[52:53], v[196:197], v[76:79]// 000000003CDC: D3F3004C 0D338934
	v_mfma_f32_16x16x32_fp8_fp8 v[76:79], a[54:55], v[198:199], v[76:79]// 000000003CE4: D3F3004C 0D338D36
	ds_read_b128 v[168:171], v2 offset:1152                    // 000000003CEC: D9FE0480 A8000002
	v_mfma_f32_16x16x32_fp8_fp8 v[76:79], a[56:57], v[200:201], v[76:79]// 000000003CF4: D3F3004C 0D339138
	v_mfma_f32_16x16x32_fp8_fp8 v[76:79], a[58:59], v[202:203], v[76:79]// 000000003CFC: D3F3004C 0D33953A
	buffer_load_dwordx4 a[28:31], v33, s[24:27], 0 offen offset:3072// 000000003D04: E05C1C00 80861C21
	v_mfma_f32_16x16x32_fp8_fp8 v[76:79], a[60:61], v[204:205], v[76:79]// 000000003D0C: D3F3004C 0D33993C
	v_mfma_f32_16x16x32_fp8_fp8 v[76:79], a[62:63], v[206:207], v[76:79]// 000000003D14: D3F3004C 0D339D3E
	ds_read_b128 v[172:175], v2 offset:1216                    // 000000003D1C: D9FE04C0 AC000002
	s_add_u32 s60, 0x200, s80                                  // 000000003D24: 803C50FF 00000200
	s_cmp_lt_u32 s60, s81                                      // 000000003D2C: BF0A513C
	s_cselect_b32 s57, s57, 0                                  // 000000003D30: 85398039
	s_add_u32 s60, 0x200, s80                                  // 000000003D34: 803C50FF 00000200
	s_cmp_lt_u32 s60, s81                                      // 000000003D3C: BF0A513C
	s_cselect_b32 s58, s58, 0                                  // 000000003D40: 853A803A
	s_add_u32 s20, s57, s20                                    // 000000003D44: 80141439
	s_addc_u32 s21, 0, s21                                     // 000000003D48: 82151580
	s_add_u32 s24, s58, s24                                    // 000000003D4C: 8018183A
	s_addc_u32 s25, 0, s25                                     // 000000003D50: 82191980
	s_add_u32 s92, s90, s92                                    // 000000003D54: 805C5C5A
	s_addc_u32 s93, 0, s93                                     // 000000003D58: 825D5D80
	s_addk_i32 s80, 0x100                                      // 000000003D5C: B7500100
	s_cmp_lt_i32 s80, s81                                      // 000000003D60: BF045150
	s_cbranch_scc0 label_03DB                                  // 000000003D64: BF840001
	s_branch label_0212                                        // 000000003D68: BF82FE37

0000000000003d6c <label_03DB>:
	s_mov_b32 s36, -1                                          // 000000003D6C: BEA400C1
	s_mov_b32 s37, -1                                          // 000000003D70: BEA500C1
	s_mov_b64 s[60:61], 0                                      // 000000003D74: BEBC0180
	s_cmp_lt_u32 s82, s66                                      // 000000003D78: BF0A4252
	s_cselect_b64 s[20:21], s[36:37], s[60:61]                 // 000000003D7C: 85943C24
	s_cmp_lt_u32 s83, s66                                      // 000000003D80: BF0A4253
	s_cselect_b64 s[22:23], s[36:37], s[60:61]                 // 000000003D84: 85963C24
	s_cmp_lt_u32 s84, s66                                      // 000000003D88: BF0A4254
	s_cselect_b64 s[24:25], s[36:37], s[60:61]                 // 000000003D8C: 85983C24
	s_cmp_lt_u32 s85, s66                                      // 000000003D90: BF0A4255
	s_cselect_b64 s[26:27], s[36:37], s[60:61]                 // 000000003D94: 859A3C24
	s_cmp_lt_u32 s86, s66                                      // 000000003D98: BF0A4256
	s_cselect_b64 s[28:29], s[36:37], s[60:61]                 // 000000003D9C: 859C3C24
	s_cmp_lt_u32 s87, s66                                      // 000000003DA0: BF0A4257
	s_cselect_b64 s[30:31], s[36:37], s[60:61]                 // 000000003DA4: 859E3C24
	s_cmp_lt_u32 s88, s66                                      // 000000003DA8: BF0A4258
	s_cselect_b64 s[32:33], s[36:37], s[60:61]                 // 000000003DAC: 85A03C24
	s_cmp_lt_u32 s89, s66                                      // 000000003DB0: BF0A4259
	s_cselect_b64 s[34:35], s[36:37], s[60:61]                 // 000000003DB4: 85A23C24
	v_mul_f32_e32 v128, v13, v128                              // 000000003DB8: 0B01010D
	v_mul_f32_e32 v128, v17, v128                              // 000000003DBC: 0B010111
	v_mul_f32_e32 v129, v13, v129                              // 000000003DC0: 0B03030D
	v_mul_f32_e32 v129, v17, v129                              // 000000003DC4: 0B030311
	v_mul_f32_e32 v130, v13, v130                              // 000000003DC8: 0B05050D
	v_mul_f32_e32 v130, v17, v130                              // 000000003DCC: 0B050511
	v_mul_f32_e32 v131, v13, v131                              // 000000003DD0: 0B07070D
	v_mul_f32_e32 v131, v17, v131                              // 000000003DD4: 0B070711
	v_mul_f32_dpp v128, v15, v128 row_newbcast:0 row_mask:0xf bank_mask:0xf// 000000003DD8: 0B0100FA FF01500F
	v_mul_f32_dpp v129, v15, v129 row_newbcast:1 row_mask:0xf bank_mask:0xf// 000000003DE0: 0B0302FA FF01510F
	v_mul_f32_dpp v130, v15, v130 row_newbcast:2 row_mask:0xf bank_mask:0xf// 000000003DE8: 0B0504FA FF01520F
	v_mul_f32_dpp v131, v15, v131 row_newbcast:3 row_mask:0xf bank_mask:0xf// 000000003DF0: 0B0706FA FF01530F
	v_mul_f32_e32 v132, v14, v132                              // 000000003DF8: 0B09090E
	v_mul_f32_e32 v132, v18, v132                              // 000000003DFC: 0B090912
	v_mul_f32_e32 v133, v14, v133                              // 000000003E00: 0B0B0B0E
	v_mul_f32_e32 v133, v18, v133                              // 000000003E04: 0B0B0B12
	v_mul_f32_e32 v134, v14, v134                              // 000000003E08: 0B0D0D0E
	v_mul_f32_e32 v134, v18, v134                              // 000000003E0C: 0B0D0D12
	v_mul_f32_e32 v135, v14, v135                              // 000000003E10: 0B0F0F0E
	v_mul_f32_e32 v135, v18, v135                              // 000000003E14: 0B0F0F12
	v_mul_f32_dpp v132, v15, v132 row_newbcast:0 row_mask:0xf bank_mask:0xf// 000000003E18: 0B0908FA FF01500F
	v_mul_f32_dpp v133, v15, v133 row_newbcast:1 row_mask:0xf bank_mask:0xf// 000000003E20: 0B0B0AFA FF01510F
	v_mul_f32_dpp v134, v15, v134 row_newbcast:2 row_mask:0xf bank_mask:0xf// 000000003E28: 0B0D0CFA FF01520F
	v_mul_f32_dpp v135, v15, v135 row_newbcast:3 row_mask:0xf bank_mask:0xf// 000000003E30: 0B0F0EFA FF01530F
	v_mul_f32_e32 v136, v13, v136                              // 000000003E38: 0B11110D
	v_mul_f32_e32 v136, v17, v136                              // 000000003E3C: 0B111111
	v_mul_f32_e32 v137, v13, v137                              // 000000003E40: 0B13130D
	v_mul_f32_e32 v137, v17, v137                              // 000000003E44: 0B131311
	v_mul_f32_e32 v138, v13, v138                              // 000000003E48: 0B15150D
	v_mul_f32_e32 v138, v17, v138                              // 000000003E4C: 0B151511
	v_mul_f32_e32 v139, v13, v139                              // 000000003E50: 0B17170D
	v_mul_f32_e32 v139, v17, v139                              // 000000003E54: 0B171711
	v_mul_f32_dpp v136, v15, v136 row_newbcast:4 row_mask:0xf bank_mask:0xf// 000000003E58: 0B1110FA FF01540F
	v_mul_f32_dpp v137, v15, v137 row_newbcast:5 row_mask:0xf bank_mask:0xf// 000000003E60: 0B1312FA FF01550F
	v_mul_f32_dpp v138, v15, v138 row_newbcast:6 row_mask:0xf bank_mask:0xf// 000000003E68: 0B1514FA FF01560F
	v_mul_f32_dpp v139, v15, v139 row_newbcast:7 row_mask:0xf bank_mask:0xf// 000000003E70: 0B1716FA FF01570F
	v_mul_f32_e32 v140, v14, v140                              // 000000003E78: 0B19190E
	v_mul_f32_e32 v140, v18, v140                              // 000000003E7C: 0B191912
	v_mul_f32_e32 v141, v14, v141                              // 000000003E80: 0B1B1B0E
	v_mul_f32_e32 v141, v18, v141                              // 000000003E84: 0B1B1B12
	v_mul_f32_e32 v142, v14, v142                              // 000000003E88: 0B1D1D0E
	v_mul_f32_e32 v142, v18, v142                              // 000000003E8C: 0B1D1D12
	v_mul_f32_e32 v143, v14, v143                              // 000000003E90: 0B1F1F0E
	v_mul_f32_e32 v143, v18, v143                              // 000000003E94: 0B1F1F12
	v_mul_f32_dpp v140, v15, v140 row_newbcast:4 row_mask:0xf bank_mask:0xf// 000000003E98: 0B1918FA FF01540F
	v_mul_f32_dpp v141, v15, v141 row_newbcast:5 row_mask:0xf bank_mask:0xf// 000000003EA0: 0B1B1AFA FF01550F
	v_mul_f32_dpp v142, v15, v142 row_newbcast:6 row_mask:0xf bank_mask:0xf// 000000003EA8: 0B1D1CFA FF01560F
	v_mul_f32_dpp v143, v15, v143 row_newbcast:7 row_mask:0xf bank_mask:0xf// 000000003EB0: 0B1F1EFA FF01570F
	v_mul_f32_e32 v64, v13, v64                                // 000000003EB8: 0A80810D
	v_mul_f32_e32 v64, v17, v64                                // 000000003EBC: 0A808111
	v_mul_f32_e32 v65, v13, v65                                // 000000003EC0: 0A82830D
	v_mul_f32_e32 v65, v17, v65                                // 000000003EC4: 0A828311
	v_mul_f32_e32 v66, v13, v66                                // 000000003EC8: 0A84850D
	v_mul_f32_e32 v66, v17, v66                                // 000000003ECC: 0A848511
	v_mul_f32_e32 v67, v13, v67                                // 000000003ED0: 0A86870D
	v_mul_f32_e32 v67, v17, v67                                // 000000003ED4: 0A868711
	v_mul_f32_dpp v64, v42, v64 row_newbcast:0 row_mask:0xf bank_mask:0xf// 000000003ED8: 0A8080FA FF01502A
	v_mul_f32_dpp v65, v42, v65 row_newbcast:1 row_mask:0xf bank_mask:0xf// 000000003EE0: 0A8282FA FF01512A
	v_mul_f32_dpp v66, v42, v66 row_newbcast:2 row_mask:0xf bank_mask:0xf// 000000003EE8: 0A8484FA FF01522A
	v_mul_f32_dpp v67, v42, v67 row_newbcast:3 row_mask:0xf bank_mask:0xf// 000000003EF0: 0A8686FA FF01532A
	v_mul_f32_e32 v68, v14, v68                                // 000000003EF8: 0A88890E
	v_mul_f32_e32 v68, v18, v68                                // 000000003EFC: 0A888912
	v_mul_f32_e32 v69, v14, v69                                // 000000003F00: 0A8A8B0E
	v_mul_f32_e32 v69, v18, v69                                // 000000003F04: 0A8A8B12
	v_mul_f32_e32 v70, v14, v70                                // 000000003F08: 0A8C8D0E
	v_mul_f32_e32 v70, v18, v70                                // 000000003F0C: 0A8C8D12
	v_mul_f32_e32 v71, v14, v71                                // 000000003F10: 0A8E8F0E
	v_mul_f32_e32 v71, v18, v71                                // 000000003F14: 0A8E8F12
	v_mul_f32_dpp v68, v42, v68 row_newbcast:0 row_mask:0xf bank_mask:0xf// 000000003F18: 0A8888FA FF01502A
	v_mul_f32_dpp v69, v42, v69 row_newbcast:1 row_mask:0xf bank_mask:0xf// 000000003F20: 0A8A8AFA FF01512A
	v_mul_f32_dpp v70, v42, v70 row_newbcast:2 row_mask:0xf bank_mask:0xf// 000000003F28: 0A8C8CFA FF01522A
	v_mul_f32_dpp v71, v42, v71 row_newbcast:3 row_mask:0xf bank_mask:0xf// 000000003F30: 0A8E8EFA FF01532A
	v_mul_f32_e32 v72, v13, v72                                // 000000003F38: 0A90910D
	v_mul_f32_e32 v72, v17, v72                                // 000000003F3C: 0A909111
	v_mul_f32_e32 v73, v13, v73                                // 000000003F40: 0A92930D
	v_mul_f32_e32 v73, v17, v73                                // 000000003F44: 0A929311
	v_mul_f32_e32 v74, v13, v74                                // 000000003F48: 0A94950D
	v_mul_f32_e32 v74, v17, v74                                // 000000003F4C: 0A949511
	v_mul_f32_e32 v75, v13, v75                                // 000000003F50: 0A96970D
	v_mul_f32_e32 v75, v17, v75                                // 000000003F54: 0A969711
	v_mul_f32_dpp v72, v42, v72 row_newbcast:4 row_mask:0xf bank_mask:0xf// 000000003F58: 0A9090FA FF01542A
	v_mul_f32_dpp v73, v42, v73 row_newbcast:5 row_mask:0xf bank_mask:0xf// 000000003F60: 0A9292FA FF01552A
	v_mul_f32_dpp v74, v42, v74 row_newbcast:6 row_mask:0xf bank_mask:0xf// 000000003F68: 0A9494FA FF01562A
	v_mul_f32_dpp v75, v42, v75 row_newbcast:7 row_mask:0xf bank_mask:0xf// 000000003F70: 0A9696FA FF01572A
	v_mul_f32_e32 v76, v14, v76                                // 000000003F78: 0A98990E
	v_mul_f32_e32 v76, v18, v76                                // 000000003F7C: 0A989912
	v_mul_f32_e32 v77, v14, v77                                // 000000003F80: 0A9A9B0E
	v_mul_f32_e32 v77, v18, v77                                // 000000003F84: 0A9A9B12
	v_mul_f32_e32 v78, v14, v78                                // 000000003F88: 0A9C9D0E
	v_mul_f32_e32 v78, v18, v78                                // 000000003F8C: 0A9C9D12
	v_mul_f32_e32 v79, v14, v79                                // 000000003F90: 0A9E9F0E
	v_mul_f32_e32 v79, v18, v79                                // 000000003F94: 0A9E9F12
	v_mul_f32_dpp v76, v42, v76 row_newbcast:4 row_mask:0xf bank_mask:0xf// 000000003F98: 0A9898FA FF01542A
	v_mul_f32_dpp v77, v42, v77 row_newbcast:5 row_mask:0xf bank_mask:0xf// 000000003FA0: 0A9A9AFA FF01552A
	v_mul_f32_dpp v78, v42, v78 row_newbcast:6 row_mask:0xf bank_mask:0xf// 000000003FA8: 0A9C9CFA FF01562A
	v_mul_f32_dpp v79, v42, v79 row_newbcast:7 row_mask:0xf bank_mask:0xf// 000000003FB0: 0A9E9EFA FF01572A
	s_waitcnt vmcnt(4)                                         // 000000003FB8: BF8C0F74
	buffer_load_dwordx4 a[0:3], v34, s[12:15], 0 offen         // 000000003FBC: E05C1000 80830022
	v_mul_f32_e64 v44, -v128, s6                               // 000000003FC4: D105002C 20000D80
	v_mul_f32_e64 v45, -v129, s6                               // 000000003FCC: D105002D 20000D81
	v_mul_f32_e64 v46, -v130, s6                               // 000000003FD4: D105002E 20000D82
	v_mul_f32_e64 v47, -v131, s6                               // 000000003FDC: D105002F 20000D83
	v_exp_f32_e32 v44, v44                                     // 000000003FE4: 7E58412C
	v_exp_f32_e32 v45, v45                                     // 000000003FE8: 7E5A412D
	v_exp_f32_e32 v46, v46                                     // 000000003FEC: 7E5C412E
	v_exp_f32_e32 v47, v47                                     // 000000003FF0: 7E5E412F
	buffer_load_dwordx4 a[4:7], v35, s[12:15], 0 offen         // 000000003FF4: E05C1000 80830423
	v_add_f32_e64 v44, v44, 1.0                                // 000000003FFC: D101002C 0001E52C
	v_add_f32_e64 v45, v45, 1.0                                // 000000004004: D101002D 0001E52D
	v_add_f32_e64 v46, v46, 1.0                                // 00000000400C: D101002E 0001E52E
	v_add_f32_e64 v47, v47, 1.0                                // 000000004014: D101002F 0001E52F
	v_rcp_f32_e32 v44, v44                                     // 00000000401C: 7E58452C
	v_rcp_f32_e32 v45, v45                                     // 000000004020: 7E5A452D
	v_rcp_f32_e32 v46, v46                                     // 000000004024: 7E5C452E
	v_rcp_f32_e32 v47, v47                                     // 000000004028: 7E5E452F
	v_mul_f32_e32 v128, v128, v44                              // 00000000402C: 0B005980
	v_mul_f32_e32 v129, v129, v45                              // 000000004030: 0B025B81
	v_mul_f32_e32 v130, v130, v46                              // 000000004034: 0B045D82
	v_mul_f32_e32 v131, v131, v47                              // 000000004038: 0B065F83
	v_mul_f32_e32 v128, v128, v64                              // 00000000403C: 0B008180
	v_mul_f32_e32 v129, v129, v65                              // 000000004040: 0B028381
	v_mul_f32_e32 v130, v130, v66                              // 000000004044: 0B048582
	v_mul_f32_e32 v131, v131, v67                              // 000000004048: 0B068783
	buffer_load_dwordx4 a[8:11], v36, s[12:15], 0 offen        // 00000000404C: E05C1000 80830824
	v_mul_f32_e64 v44, -v132, s6                               // 000000004054: D105002C 20000D84
	v_mul_f32_e64 v45, -v133, s6                               // 00000000405C: D105002D 20000D85
	v_mul_f32_e64 v46, -v134, s6                               // 000000004064: D105002E 20000D86
	v_mul_f32_e64 v47, -v135, s6                               // 00000000406C: D105002F 20000D87
	v_exp_f32_e32 v44, v44                                     // 000000004074: 7E58412C
	v_exp_f32_e32 v45, v45                                     // 000000004078: 7E5A412D
	v_exp_f32_e32 v46, v46                                     // 00000000407C: 7E5C412E
	v_exp_f32_e32 v47, v47                                     // 000000004080: 7E5E412F
	buffer_load_dwordx4 a[12:15], v37, s[12:15], 0 offen       // 000000004084: E05C1000 80830C25
	s_add_u32 s12, s78, s12                                    // 00000000408C: 800C0C4E
	s_addc_u32 s13, 0, s13                                     // 000000004090: 820D0D80
	v_add_f32_e64 v44, v44, 1.0                                // 000000004094: D101002C 0001E52C
	v_add_f32_e64 v45, v45, 1.0                                // 00000000409C: D101002D 0001E52D
	v_add_f32_e64 v46, v46, 1.0                                // 0000000040A4: D101002E 0001E52E
	v_add_f32_e64 v47, v47, 1.0                                // 0000000040AC: D101002F 0001E52F
	v_rcp_f32_e32 v44, v44                                     // 0000000040B4: 7E58452C
	v_rcp_f32_e32 v45, v45                                     // 0000000040B8: 7E5A452D
	v_rcp_f32_e32 v46, v46                                     // 0000000040BC: 7E5C452E
	v_rcp_f32_e32 v47, v47                                     // 0000000040C0: 7E5E452F
	v_mul_f32_e32 v132, v132, v44                              // 0000000040C4: 0B085984
	v_mul_f32_e32 v133, v133, v45                              // 0000000040C8: 0B0A5B85
	v_mul_f32_e32 v134, v134, v46                              // 0000000040CC: 0B0C5D86
	v_mul_f32_e32 v135, v135, v47                              // 0000000040D0: 0B0E5F87
	v_mul_f32_e32 v132, v132, v68                              // 0000000040D4: 0B088984
	v_mul_f32_e32 v133, v133, v69                              // 0000000040D8: 0B0A8B85
	v_mul_f32_e32 v134, v134, v70                              // 0000000040DC: 0B0C8D86
	v_mul_f32_e32 v135, v135, v71                              // 0000000040E0: 0B0E8F87
	s_waitcnt vmcnt(4)                                         // 0000000040E4: BF8C0F74
	buffer_load_dwordx4 a[16:19], v34, s[12:15], 0 offen       // 0000000040E8: E05C1000 80831022
	v_mul_f32_e64 v44, -v136, s6                               // 0000000040F0: D105002C 20000D88
	v_mul_f32_e64 v45, -v137, s6                               // 0000000040F8: D105002D 20000D89
	v_mul_f32_e64 v46, -v138, s6                               // 000000004100: D105002E 20000D8A
	v_mul_f32_e64 v47, -v139, s6                               // 000000004108: D105002F 20000D8B
	v_exp_f32_e32 v44, v44                                     // 000000004110: 7E58412C
	v_exp_f32_e32 v45, v45                                     // 000000004114: 7E5A412D
	v_exp_f32_e32 v46, v46                                     // 000000004118: 7E5C412E
	v_exp_f32_e32 v47, v47                                     // 00000000411C: 7E5E412F
	buffer_load_dwordx4 a[20:23], v35, s[12:15], 0 offen       // 000000004120: E05C1000 80831423
	v_add_f32_e64 v44, v44, 1.0                                // 000000004128: D101002C 0001E52C
	v_add_f32_e64 v45, v45, 1.0                                // 000000004130: D101002D 0001E52D
	v_add_f32_e64 v46, v46, 1.0                                // 000000004138: D101002E 0001E52E
	v_add_f32_e64 v47, v47, 1.0                                // 000000004140: D101002F 0001E52F
	v_rcp_f32_e32 v44, v44                                     // 000000004148: 7E58452C
	v_rcp_f32_e32 v45, v45                                     // 00000000414C: 7E5A452D
	v_rcp_f32_e32 v46, v46                                     // 000000004150: 7E5C452E
	v_rcp_f32_e32 v47, v47                                     // 000000004154: 7E5E452F
	v_mul_f32_e32 v136, v136, v44                              // 000000004158: 0B105988
	v_mul_f32_e32 v137, v137, v45                              // 00000000415C: 0B125B89
	v_mul_f32_e32 v138, v138, v46                              // 000000004160: 0B145D8A
	v_mul_f32_e32 v139, v139, v47                              // 000000004164: 0B165F8B
	v_mul_f32_e32 v136, v136, v72                              // 000000004168: 0B109188
	v_mul_f32_e32 v137, v137, v73                              // 00000000416C: 0B129389
	v_mul_f32_e32 v138, v138, v74                              // 000000004170: 0B14958A
	v_mul_f32_e32 v139, v139, v75                              // 000000004174: 0B16978B
	buffer_load_dwordx4 a[24:27], v36, s[12:15], 0 offen       // 000000004178: E05C1000 80831824
	v_mul_f32_e64 v44, -v140, s6                               // 000000004180: D105002C 20000D8C
	v_mul_f32_e64 v45, -v141, s6                               // 000000004188: D105002D 20000D8D
	v_mul_f32_e64 v46, -v142, s6                               // 000000004190: D105002E 20000D8E
	v_mul_f32_e64 v47, -v143, s6                               // 000000004198: D105002F 20000D8F
	v_exp_f32_e32 v44, v44                                     // 0000000041A0: 7E58412C
	v_exp_f32_e32 v45, v45                                     // 0000000041A4: 7E5A412D
	v_exp_f32_e32 v46, v46                                     // 0000000041A8: 7E5C412E
	v_exp_f32_e32 v47, v47                                     // 0000000041AC: 7E5E412F
	buffer_load_dwordx4 a[28:31], v37, s[12:15], 0 offen       // 0000000041B0: E05C1000 80831C25
	v_add_f32_e64 v44, v44, 1.0                                // 0000000041B8: D101002C 0001E52C
	v_add_f32_e64 v45, v45, 1.0                                // 0000000041C0: D101002D 0001E52D
	v_add_f32_e64 v46, v46, 1.0                                // 0000000041C8: D101002E 0001E52E
	v_add_f32_e64 v47, v47, 1.0                                // 0000000041D0: D101002F 0001E52F
	v_rcp_f32_e32 v44, v44                                     // 0000000041D8: 7E58452C
	v_rcp_f32_e32 v45, v45                                     // 0000000041DC: 7E5A452D
	v_rcp_f32_e32 v46, v46                                     // 0000000041E0: 7E5C452E
	v_rcp_f32_e32 v47, v47                                     // 0000000041E4: 7E5E452F
	v_mul_f32_e32 v140, v140, v44                              // 0000000041E8: 0B18598C
	v_mul_f32_e32 v141, v141, v45                              // 0000000041EC: 0B1A5B8D
	v_mul_f32_e32 v142, v142, v46                              // 0000000041F0: 0B1C5D8E
	v_mul_f32_e32 v143, v143, v47                              // 0000000041F4: 0B1E5F8F
	v_mul_f32_e32 v140, v140, v76                              // 0000000041F8: 0B18998C
	v_mul_f32_e32 v141, v141, v77                              // 0000000041FC: 0B1A9B8D
	v_mul_f32_e32 v142, v142, v78                              // 000000004200: 0B1C9D8E
	v_mul_f32_e32 v143, v143, v79                              // 000000004204: 0B1E9F8F
	v_lshlrev_b32_e32 v44, 2, v0                               // 000000004208: 24580082
	s_mul_i32 s60, s82, s71                                    // 00000000420C: 923C4752
	v_add_u32_e64 v80, v44, s60                                // 000000004210: D1340050 0000792C
	v_mov_b32_e32 v81, 0                                       // 000000004218: 7EA20280
	s_mul_i32 s60, s83, s71                                    // 00000000421C: 923C4753
	v_add_u32_e64 v82, v44, s60                                // 000000004220: D1340052 0000792C
	v_mov_b32_e32 v83, 0                                       // 000000004228: 7EA60280
	s_mul_i32 s60, s84, s71                                    // 00000000422C: 923C4754
	v_add_u32_e64 v84, v44, s60                                // 000000004230: D1340054 0000792C
	v_mov_b32_e32 v85, 0                                       // 000000004238: 7EAA0280
	s_mul_i32 s60, s85, s71                                    // 00000000423C: 923C4755
	v_add_u32_e64 v86, v44, s60                                // 000000004240: D1340056 0000792C
	v_mov_b32_e32 v87, 0                                       // 000000004248: 7EAE0280
	s_mul_i32 s60, s86, s71                                    // 00000000424C: 923C4756
	v_add_u32_e64 v88, v44, s60                                // 000000004250: D1340058 0000792C
	v_mov_b32_e32 v89, 0                                       // 000000004258: 7EB20280
	s_mul_i32 s60, s87, s71                                    // 00000000425C: 923C4757
	v_add_u32_e64 v90, v44, s60                                // 000000004260: D134005A 0000792C
	v_mov_b32_e32 v91, 0                                       // 000000004268: 7EB60280
	s_mul_i32 s60, s88, s71                                    // 00000000426C: 923C4758
	v_add_u32_e64 v92, v44, s60                                // 000000004270: D134005C 0000792C
	v_mov_b32_e32 v93, 0                                       // 000000004278: 7EBA0280
	s_mul_i32 s60, s89, s71                                    // 00000000427C: 923C4759
	v_add_u32_e64 v94, v44, s60                                // 000000004280: D134005E 0000792C
	v_mov_b32_e32 v95, 0                                       // 000000004288: 7EBE0280
	buffer_load_dword v11, v5, s[16:19], 0 offen               // 00000000428C: E0501000 80040B05
	v_mov_b32_e32 v20, 0x358637bd                              // 000000004294: 7E2802FF 358637BD
	v_mov_b32_e32 v21, 0x358637bd                              // 00000000429C: 7E2A02FF 358637BD
	v_max3_f32 v20, |v128|, |v129|, v20                        // 0000000042A4: D1D30314 04530380
	v_max3_f32 v20, |v130|, |v131|, v20                        // 0000000042AC: D1D30314 04530782
	v_max3_f32 v21, |v132|, |v133|, v21                        // 0000000042B4: D1D30315 04570B84
	v_max3_f32 v21, |v134|, |v135|, v21                        // 0000000042BC: D1D30315 04570F86
	v_max3_f32 v20, |v136|, |v137|, v20                        // 0000000042C4: D1D30314 04531388
	v_max3_f32 v20, |v138|, |v139|, v20                        // 0000000042CC: D1D30314 0453178A
	v_max3_f32 v21, |v140|, |v141|, v21                        // 0000000042D4: D1D30315 04571B8C
	v_max3_f32 v21, |v142|, |v143|, v21                        // 0000000042DC: D1D30315 04571F8E
	v_lshlrev_b32_e32 v44, 3, v0                               // 0000000042E4: 24580083
	s_mul_i32 s60, 0x200, s7                                   // 0000000042E8: 923C07FF 00000200
	v_add_u32_e32 v44, s60, v44                                // 0000000042F0: 6858583C
	ds_write_b64 v44, v[20:21] offset:16640                    // 0000000042F4: D89A4100 0000142C
	s_waitcnt lgkmcnt(0)                                       // 0000000042FC: BF8CC07F
	s_barrier                                                  // 000000004300: BF8A0000
	v_and_b32_e32 v44, 15, v0                                  // 000000004304: 2658008F
	v_lshlrev_b32_e32 v44, 3, v44                              // 000000004308: 24585883
	ds_read_b64 v[96:97], v44 offset:16640                     // 00000000430C: D8EC4100 6000002C
	ds_read_b64 v[98:99], v44 offset:16768                     // 000000004314: D8EC4180 6200002C
	ds_read_b64 v[100:101], v44 offset:16896                   // 00000000431C: D8EC4200 6400002C
	ds_read_b64 v[102:103], v44 offset:17024                   // 000000004324: D8EC4280 6600002C
	ds_read_b64 v[104:105], v44 offset:17152                   // 00000000432C: D8EC4300 6800002C
	ds_read_b64 v[106:107], v44 offset:17280                   // 000000004334: D8EC4380 6A00002C
	ds_read_b64 v[108:109], v44 offset:17408                   // 00000000433C: D8EC4400 6C00002C
	ds_read_b64 v[110:111], v44 offset:17536                   // 000000004344: D8EC4480 6E00002C
	ds_read_b64 v[112:113], v44 offset:17664                   // 00000000434C: D8EC4500 7000002C
	ds_read_b64 v[114:115], v44 offset:17792                   // 000000004354: D8EC4580 7200002C
	ds_read_b64 v[116:117], v44 offset:17920                   // 00000000435C: D8EC4600 7400002C
	ds_read_b64 v[118:119], v44 offset:18048                   // 000000004364: D8EC4680 7600002C
	ds_read_b64 v[120:121], v44 offset:18176                   // 00000000436C: D8EC4700 7800002C
	ds_read_b64 v[122:123], v44 offset:18304                   // 000000004374: D8EC4780 7A00002C
	ds_read_b64 v[124:125], v44 offset:18432                   // 00000000437C: D8EC4800 7C00002C
	ds_read_b64 v[126:127], v44 offset:18560                   // 000000004384: D8EC4880 7E00002C
	s_waitcnt lgkmcnt(0)                                       // 00000000438C: BF8CC07F
	v_max3_f32 v20, |v96|, |v98|, v20                          // 000000004390: D1D30314 0452C560
	v_max3_f32 v21, |v97|, |v99|, v21                          // 000000004398: D1D30315 0456C761
	v_max3_f32 v20, |v100|, |v102|, v20                        // 0000000043A0: D1D30314 0452CD64
	v_max3_f32 v21, |v101|, |v103|, v21                        // 0000000043A8: D1D30315 0456CF65
	v_max3_f32 v20, |v104|, |v106|, v20                        // 0000000043B0: D1D30314 0452D568
	v_max3_f32 v21, |v105|, |v107|, v21                        // 0000000043B8: D1D30315 0456D769
	v_max3_f32 v20, |v108|, |v110|, v20                        // 0000000043C0: D1D30314 0452DD6C
	v_max3_f32 v21, |v109|, |v111|, v21                        // 0000000043C8: D1D30315 0456DF6D
	v_max3_f32 v20, |v112|, |v114|, v20                        // 0000000043D0: D1D30314 0452E570
	v_max3_f32 v21, |v113|, |v115|, v21                        // 0000000043D8: D1D30315 0456E771
	v_max3_f32 v20, |v116|, |v118|, v20                        // 0000000043E0: D1D30314 0452ED74
	v_max3_f32 v21, |v117|, |v119|, v21                        // 0000000043E8: D1D30315 0456EF75
	v_max3_f32 v20, |v120|, |v122|, v20                        // 0000000043F0: D1D30314 0452F578
	v_max3_f32 v21, |v121|, |v123|, v21                        // 0000000043F8: D1D30315 0456F779
	v_max3_f32 v20, |v124|, |v126|, v20                        // 000000004400: D1D30314 0452FD7C
	v_max3_f32 v21, |v125|, |v127|, v21                        // 000000004408: D1D30315 0456FF7D
	v_rcp_f32_e32 v20, v20                                     // 000000004410: 7E284514
	v_rcp_f32_e32 v21, v21                                     // 000000004414: 7E2A4515
	v_mov_b32_e32 v44, 0x43700000                              // 000000004418: 7E5802FF 43700000
	v_mul_f32_e32 v20, v44, v20                                // 000000004420: 0A28292C
	v_mul_f32_e32 v21, v44, v21                                // 000000004424: 0A2A2B2C
	v_mul_f32_e32 v128, v20, v128                              // 000000004428: 0B010114
	v_mul_f32_e32 v129, v20, v129                              // 00000000442C: 0B030314
	v_mul_f32_e32 v130, v20, v130                              // 000000004430: 0B050514
	v_mul_f32_e32 v131, v20, v131                              // 000000004434: 0B070714
	v_cvt_pk_fp8_f32 v128, v128, v129                          // 000000004438: D2A20080 00030380
	v_cvt_pk_fp8_f32 v128, v130, v131 op_sel:[0,0,1]           // 000000004440: D2A24080 00030782
	v_mul_f32_e32 v132, v21, v132                              // 000000004448: 0B090915
	v_mul_f32_e32 v133, v21, v133                              // 00000000444C: 0B0B0B15
	v_mul_f32_e32 v134, v21, v134                              // 000000004450: 0B0D0D15
	v_mul_f32_e32 v135, v21, v135                              // 000000004454: 0B0F0F15
	v_cvt_pk_fp8_f32 v129, v132, v133                          // 000000004458: D2A20081 00030B84
	v_cvt_pk_fp8_f32 v129, v134, v135 op_sel:[0,0,1]           // 000000004460: D2A24081 00030F86
	v_mul_f32_e32 v136, v20, v136                              // 000000004468: 0B111114
	v_mul_f32_e32 v137, v20, v137                              // 00000000446C: 0B131314
	v_mul_f32_e32 v138, v20, v138                              // 000000004470: 0B151514
	v_mul_f32_e32 v139, v20, v139                              // 000000004474: 0B171714
	v_cvt_pk_fp8_f32 v130, v136, v137                          // 000000004478: D2A20082 00031388
	v_cvt_pk_fp8_f32 v130, v138, v139 op_sel:[0,0,1]           // 000000004480: D2A24082 0003178A
	v_mul_f32_e32 v140, v21, v140                              // 000000004488: 0B191915
	v_mul_f32_e32 v141, v21, v141                              // 00000000448C: 0B1B1B15
	v_mul_f32_e32 v142, v21, v142                              // 000000004490: 0B1D1D15
	v_mul_f32_e32 v143, v21, v143                              // 000000004494: 0B1F1F15
	v_cvt_pk_fp8_f32 v131, v140, v141                          // 000000004498: D2A20083 00031B8C
	v_cvt_pk_fp8_f32 v131, v142, v143 op_sel:[0,0,1]           // 0000000044A0: D2A24083 00031F8E
	v_rcp_f32_e32 v22, v20                                     // 0000000044A8: 7E2C4514
	v_rcp_f32_e32 v23, v21                                     // 0000000044AC: 7E2E4515
	v_lshrrev_b32_e32 v44, 5, v0                               // 0000000044B0: 20580085
	v_lshlrev_b32_e32 v45, 5, v44                              // 0000000044B4: 245A5885
	v_and_b32_e32 v44, 31, v0                                  // 0000000044B8: 2658009F
	v_lshrrev_b32_e32 v46, 4, v44                              // 0000000044BC: 205C5884
	v_add_u32_e32 v45, v46, v45                                // 0000000044C0: 685A5B2E
	v_and_b32_e32 v44, 15, v0                                  // 0000000044C4: 2658008F
	v_lshlrev_b32_e32 v44, 1, v44                              // 0000000044C8: 24585881
	v_add_u32_e32 v45, v44, v45                                // 0000000044CC: 685A5B2C
	v_lshlrev_b32_e32 v44, 2, v45                              // 0000000044D0: 24585A82
	s_mul_i32 s60, 0x100, s7                                   // 0000000044D4: 923C07FF 00000100
	v_add_u32_e64 v44, v44, s60                                // 0000000044DC: D134002C 0000792C
	ds_write_b32 v44, v128 offset:18688                        // 0000000044E4: D81A4900 0000802C
	ds_write_b32 v44, v129 offset:20736                        // 0000000044EC: D81A5100 0000812C
	ds_write_b32 v44, v130 offset:19712                        // 0000000044F4: D81A4D00 0000822C
	ds_write_b32 v44, v131 offset:21760                        // 0000000044FC: D81A5500 0000832C
	s_waitcnt lgkmcnt(0)                                       // 000000004504: BF8CC07F
	s_barrier                                                  // 000000004508: BF8A0000
	v_lshrrev_b32_e32 v44, 4, v0                               // 00000000450C: 20580084
	v_lshlrev_b32_e32 v45, 6, v44                              // 000000004510: 245A5886
	v_and_b32_e32 v44, 15, v0                                  // 000000004514: 2658008F
	v_lshlrev_b32_e32 v44, 1, v44                              // 000000004518: 24585881
	v_add_u32_e32 v45, v44, v45                                // 00000000451C: 685A5B2C
	v_lshlrev_b32_e32 v44, 2, v45                              // 000000004520: 24585A82
	ds_read_b64 v[128:129], v44 offset:18688                   // 000000004524: D8EC4900 8000002C
	ds_read_b64 v[130:131], v44 offset:18816                   // 00000000452C: D8EC4980 8200002C
	ds_read_b64 v[132:133], v44 offset:19712                   // 000000004534: D8EC4D00 8400002C
	ds_read_b64 v[134:135], v44 offset:19840                   // 00000000453C: D8EC4D80 8600002C
	ds_read_b64 v[136:137], v44 offset:20736                   // 000000004544: D8EC5100 8800002C
	ds_read_b64 v[138:139], v44 offset:20864                   // 00000000454C: D8EC5180 8A00002C
	ds_read_b64 v[140:141], v44 offset:21760                   // 000000004554: D8EC5500 8C00002C
	ds_read_b64 v[142:143], v44 offset:21888                   // 00000000455C: D8EC5580 8E00002C
	s_add_u32 s12, s56, s12                                    // 000000004564: 800C0C38
	s_addc_u32 s13, 0, s13                                     // 000000004568: 820D0D80
	s_add_u32 s16, s79, s16                                    // 00000000456C: 8010104F
	s_addc_u32 s17, 0, s17                                     // 000000004570: 82111180
	s_mov_b32 s80, 0                                           // 000000004574: BED00080
	s_waitcnt vmcnt(0) expcnt(0) lgkmcnt(0)                    // 000000004578: BF8C0000

000000000000457c <label_05DF>:
	s_waitcnt vmcnt(21)                                        // 00000000457C: BF8C4F75
	s_barrier                                                  // 000000004580: BF8A0000
	v_mfma_f32_16x16x32_fp8_fp8 v[144:147], a[0:1], v[128:129], 0// 000000004584: D3F30090 0A030100
	v_mfma_f32_16x16x32_fp8_fp8 v[144:147], a[2:3], v[130:131], v[144:147]// 00000000458C: D3F30090 0E430502
	buffer_load_dwordx4 a[32:35], v34, s[12:15], 0 offen       // 000000004594: E05C1000 80832022
	v_mfma_f32_16x16x32_fp8_fp8 v[148:151], a[0:1], v[136:137], 0// 00000000459C: D3F30094 0A031100
	v_mfma_f32_16x16x32_fp8_fp8 v[148:151], a[2:3], v[138:139], v[148:151]// 0000000045A4: D3F30094 0E531502
	v_mfma_f32_16x16x32_fp8_fp8 v[152:155], a[4:5], v[128:129], 0// 0000000045AC: D3F30098 0A030104
	v_mfma_f32_16x16x32_fp8_fp8 v[152:155], a[6:7], v[130:131], v[152:155]// 0000000045B4: D3F30098 0E630506
	buffer_load_dwordx4 a[36:39], v35, s[12:15], 0 offen       // 0000000045BC: E05C1000 80832423
	v_mfma_f32_16x16x32_fp8_fp8 v[156:159], a[4:5], v[136:137], 0// 0000000045C4: D3F3009C 0A031104
	v_mfma_f32_16x16x32_fp8_fp8 v[156:159], a[6:7], v[138:139], v[156:159]// 0000000045CC: D3F3009C 0E731506
	v_mfma_f32_16x16x32_fp8_fp8 v[160:163], a[8:9], v[128:129], 0// 0000000045D4: D3F300A0 0A030108
	v_mfma_f32_16x16x32_fp8_fp8 v[160:163], a[10:11], v[130:131], v[160:163]// 0000000045DC: D3F300A0 0E83050A
	buffer_load_dwordx4 a[40:43], v36, s[12:15], 0 offen       // 0000000045E4: E05C1000 80832824
	v_mfma_f32_16x16x32_fp8_fp8 v[164:167], a[8:9], v[136:137], 0// 0000000045EC: D3F300A4 0A031108
	v_mfma_f32_16x16x32_fp8_fp8 v[164:167], a[10:11], v[138:139], v[164:167]// 0000000045F4: D3F300A4 0E93150A
	v_mfma_f32_16x16x32_fp8_fp8 v[168:171], a[12:13], v[128:129], 0// 0000000045FC: D3F300A8 0A03010C
	v_mfma_f32_16x16x32_fp8_fp8 v[168:171], a[14:15], v[130:131], v[168:171]// 000000004604: D3F300A8 0EA3050E
	buffer_load_dwordx4 a[44:47], v37, s[12:15], 0 offen       // 00000000460C: E05C1000 80832C25
	s_add_u32 s12, s78, s12                                    // 000000004614: 800C0C4E
	s_addc_u32 s13, 0, s13                                     // 000000004618: 820D0D80
	v_mfma_f32_16x16x32_fp8_fp8 v[172:175], a[12:13], v[136:137], 0// 00000000461C: D3F300AC 0A03110C
	v_mfma_f32_16x16x32_fp8_fp8 v[172:175], a[14:15], v[138:139], v[172:175]// 000000004624: D3F300AC 0EB3150E
	s_waitcnt vmcnt(20)                                        // 00000000462C: BF8C4F74
	v_mfma_f32_16x16x32_fp8_fp8 v[144:147], a[16:17], v[132:133], v[144:147]// 000000004630: D3F30090 0E430910
	v_mfma_f32_16x16x32_fp8_fp8 v[144:147], a[18:19], v[134:135], v[144:147]// 000000004638: D3F30090 0E430D12
	buffer_load_dwordx4 a[48:51], v34, s[12:15], 0 offen       // 000000004640: E05C1000 80833022
	v_mfma_f32_16x16x32_fp8_fp8 v[148:151], a[16:17], v[140:141], v[148:151]// 000000004648: D3F30094 0E531910
	v_mfma_f32_16x16x32_fp8_fp8 v[148:151], a[18:19], v[142:143], v[148:151]// 000000004650: D3F30094 0E531D12
	buffer_load_dword v12, v5, s[16:19], 0 offen               // 000000004658: E0501000 80040C05
	v_mfma_f32_16x16x32_fp8_fp8 v[152:155], a[20:21], v[132:133], v[152:155]// 000000004660: D3F30098 0E630914
	v_mfma_f32_16x16x32_fp8_fp8 v[152:155], a[22:23], v[134:135], v[152:155]// 000000004668: D3F30098 0E630D16
	buffer_load_dwordx4 a[52:55], v35, s[12:15], 0 offen       // 000000004670: E05C1000 80833423
	v_mfma_f32_16x16x32_fp8_fp8 v[156:159], a[20:21], v[140:141], v[156:159]// 000000004678: D3F3009C 0E731914
	v_mfma_f32_16x16x32_fp8_fp8 v[156:159], a[22:23], v[142:143], v[156:159]// 000000004680: D3F3009C 0E731D16
	v_mfma_f32_16x16x32_fp8_fp8 v[160:163], a[24:25], v[132:133], v[160:163]// 000000004688: D3F300A0 0E830918
	v_mfma_f32_16x16x32_fp8_fp8 v[160:163], a[26:27], v[134:135], v[160:163]// 000000004690: D3F300A0 0E830D1A
	buffer_load_dwordx4 a[56:59], v36, s[12:15], 0 offen       // 000000004698: E05C1000 80833824
	v_mfma_f32_16x16x32_fp8_fp8 v[164:167], a[24:25], v[140:141], v[164:167]// 0000000046A0: D3F300A4 0E931918
	v_mfma_f32_16x16x32_fp8_fp8 v[164:167], a[26:27], v[142:143], v[164:167]// 0000000046A8: D3F300A4 0E931D1A
	v_mfma_f32_16x16x32_fp8_fp8 v[168:171], a[28:29], v[132:133], v[168:171]// 0000000046B0: D3F300A8 0EA3091C
	v_mfma_f32_16x16x32_fp8_fp8 v[168:171], a[30:31], v[134:135], v[168:171]// 0000000046B8: D3F300A8 0EA30D1E
	buffer_load_dwordx4 a[60:63], v37, s[12:15], 0 offen       // 0000000046C0: E05C1000 80833C25
	v_mfma_f32_16x16x32_fp8_fp8 v[172:175], a[28:29], v[140:141], v[172:175]// 0000000046C8: D3F300AC 0EB3191C
	v_mfma_f32_16x16x32_fp8_fp8 v[172:175], a[30:31], v[142:143], v[172:175]// 0000000046D0: D3F300AC 0EB31D1E
	s_add_u32 s60, 0x200, s80                                  // 0000000046D8: 803C50FF 00000200
	s_cmp_lt_u32 s60, s81                                      // 0000000046E0: BF0A513C
	s_cselect_b32 s56, s56, 0                                  // 0000000046E4: 85388038
	s_cselect_b32 s78, s78, 0                                  // 0000000046E8: 854E804E
	s_cselect_b32 s79, s79, 0                                  // 0000000046EC: 854F804F
	s_add_u32 s12, s56, s12                                    // 0000000046F0: 800C0C38
	s_addc_u32 s13, 0, s13                                     // 0000000046F4: 820D0D80
	s_add_u32 s16, s79, s16                                    // 0000000046F8: 8010104F
	s_addc_u32 s17, 0, s17                                     // 0000000046FC: 82111180
	v_mul_f32_e32 v144, v22, v144                              // 000000004700: 0B212116
	v_mul_f32_e32 v145, v22, v145                              // 000000004704: 0B232316
	v_mul_f32_e32 v146, v22, v146                              // 000000004708: 0B252516
	v_mul_f32_e32 v147, v22, v147                              // 00000000470C: 0B272716
	v_mul_f32_dpp v144, v11, v144 row_newbcast:0 row_mask:0xf bank_mask:0xf// 000000004710: 0B2120FA FF01500B
	v_mul_f32_dpp v145, v11, v145 row_newbcast:1 row_mask:0xf bank_mask:0xf// 000000004718: 0B2322FA FF01510B
	v_mul_f32_dpp v146, v11, v146 row_newbcast:2 row_mask:0xf bank_mask:0xf// 000000004720: 0B2524FA FF01520B
	v_mul_f32_dpp v147, v11, v147 row_newbcast:3 row_mask:0xf bank_mask:0xf// 000000004728: 0B2726FA FF01530B
	v_mul_f32_e32 v148, v23, v148                              // 000000004730: 0B292917
	v_mul_f32_e32 v149, v23, v149                              // 000000004734: 0B2B2B17
	v_mul_f32_e32 v150, v23, v150                              // 000000004738: 0B2D2D17
	v_mul_f32_e32 v151, v23, v151                              // 00000000473C: 0B2F2F17
	v_mul_f32_dpp v148, v11, v148 row_newbcast:0 row_mask:0xf bank_mask:0xf// 000000004740: 0B2928FA FF01500B
	v_mul_f32_dpp v149, v11, v149 row_newbcast:1 row_mask:0xf bank_mask:0xf// 000000004748: 0B2B2AFA FF01510B
	v_mul_f32_dpp v150, v11, v150 row_newbcast:2 row_mask:0xf bank_mask:0xf// 000000004750: 0B2D2CFA FF01520B
	v_mul_f32_dpp v151, v11, v151 row_newbcast:3 row_mask:0xf bank_mask:0xf// 000000004758: 0B2F2EFA FF01530B
	v_mul_f32_e32 v152, v22, v152                              // 000000004760: 0B313116
	v_mul_f32_e32 v153, v22, v153                              // 000000004764: 0B333316
	v_mul_f32_e32 v154, v22, v154                              // 000000004768: 0B353516
	v_mul_f32_e32 v155, v22, v155                              // 00000000476C: 0B373716
	v_mul_f32_dpp v152, v11, v152 row_newbcast:4 row_mask:0xf bank_mask:0xf// 000000004770: 0B3130FA FF01540B
	v_mul_f32_dpp v153, v11, v153 row_newbcast:5 row_mask:0xf bank_mask:0xf// 000000004778: 0B3332FA FF01550B
	v_mul_f32_dpp v154, v11, v154 row_newbcast:6 row_mask:0xf bank_mask:0xf// 000000004780: 0B3534FA FF01560B
	v_mul_f32_dpp v155, v11, v155 row_newbcast:7 row_mask:0xf bank_mask:0xf// 000000004788: 0B3736FA FF01570B
	v_mul_f32_e32 v156, v23, v156                              // 000000004790: 0B393917
	v_mul_f32_e32 v157, v23, v157                              // 000000004794: 0B3B3B17
	v_mul_f32_e32 v158, v23, v158                              // 000000004798: 0B3D3D17
	v_mul_f32_e32 v159, v23, v159                              // 00000000479C: 0B3F3F17
	v_mul_f32_dpp v156, v11, v156 row_newbcast:4 row_mask:0xf bank_mask:0xf// 0000000047A0: 0B3938FA FF01540B
	v_mul_f32_dpp v157, v11, v157 row_newbcast:5 row_mask:0xf bank_mask:0xf// 0000000047A8: 0B3B3AFA FF01550B
	v_mul_f32_dpp v158, v11, v158 row_newbcast:6 row_mask:0xf bank_mask:0xf// 0000000047B0: 0B3D3CFA FF01560B
	v_mul_f32_dpp v159, v11, v159 row_newbcast:7 row_mask:0xf bank_mask:0xf// 0000000047B8: 0B3F3EFA FF01570B
	v_mul_f32_e32 v160, v22, v160                              // 0000000047C0: 0B414116
	v_mul_f32_e32 v161, v22, v161                              // 0000000047C4: 0B434316
	v_mul_f32_e32 v162, v22, v162                              // 0000000047C8: 0B454516
	v_mul_f32_e32 v163, v22, v163                              // 0000000047CC: 0B474716
	v_mul_f32_dpp v160, v11, v160 row_newbcast:8 row_mask:0xf bank_mask:0xf// 0000000047D0: 0B4140FA FF01580B
	v_mul_f32_dpp v161, v11, v161 row_newbcast:9 row_mask:0xf bank_mask:0xf// 0000000047D8: 0B4342FA FF01590B
	v_mul_f32_dpp v162, v11, v162 row_newbcast:10 row_mask:0xf bank_mask:0xf// 0000000047E0: 0B4544FA FF015A0B
	v_mul_f32_dpp v163, v11, v163 row_newbcast:11 row_mask:0xf bank_mask:0xf// 0000000047E8: 0B4746FA FF015B0B
	v_mul_f32_e32 v164, v23, v164                              // 0000000047F0: 0B494917
	v_mul_f32_e32 v165, v23, v165                              // 0000000047F4: 0B4B4B17
	v_mul_f32_e32 v166, v23, v166                              // 0000000047F8: 0B4D4D17
	v_mul_f32_e32 v167, v23, v167                              // 0000000047FC: 0B4F4F17
	v_mul_f32_dpp v164, v11, v164 row_newbcast:8 row_mask:0xf bank_mask:0xf// 000000004800: 0B4948FA FF01580B
	v_mul_f32_dpp v165, v11, v165 row_newbcast:9 row_mask:0xf bank_mask:0xf// 000000004808: 0B4B4AFA FF01590B
	v_mul_f32_dpp v166, v11, v166 row_newbcast:10 row_mask:0xf bank_mask:0xf// 000000004810: 0B4D4CFA FF015A0B
	v_mul_f32_dpp v167, v11, v167 row_newbcast:11 row_mask:0xf bank_mask:0xf// 000000004818: 0B4F4EFA FF015B0B
	v_mul_f32_e32 v168, v22, v168                              // 000000004820: 0B515116
	v_mul_f32_e32 v169, v22, v169                              // 000000004824: 0B535316
	v_mul_f32_e32 v170, v22, v170                              // 000000004828: 0B555516
	v_mul_f32_e32 v171, v22, v171                              // 00000000482C: 0B575716
	v_mul_f32_dpp v168, v11, v168 row_newbcast:12 row_mask:0xf bank_mask:0xf// 000000004830: 0B5150FA FF015C0B
	v_mul_f32_dpp v169, v11, v169 row_newbcast:13 row_mask:0xf bank_mask:0xf// 000000004838: 0B5352FA FF015D0B
	v_mul_f32_dpp v170, v11, v170 row_newbcast:14 row_mask:0xf bank_mask:0xf// 000000004840: 0B5554FA FF015E0B
	v_mul_f32_dpp v171, v11, v171 row_newbcast:15 row_mask:0xf bank_mask:0xf// 000000004848: 0B5756FA FF015F0B
	v_mul_f32_e32 v172, v23, v172                              // 000000004850: 0B595917
	v_mul_f32_e32 v173, v23, v173                              // 000000004854: 0B5B5B17
	v_mul_f32_e32 v174, v23, v174                              // 000000004858: 0B5D5D17
	v_mul_f32_e32 v175, v23, v175                              // 00000000485C: 0B5F5F17
	v_mul_f32_dpp v172, v11, v172 row_newbcast:12 row_mask:0xf bank_mask:0xf// 000000004860: 0B5958FA FF015C0B
	v_mul_f32_dpp v173, v11, v173 row_newbcast:13 row_mask:0xf bank_mask:0xf// 000000004868: 0B5B5AFA FF015D0B
	v_mul_f32_dpp v174, v11, v174 row_newbcast:14 row_mask:0xf bank_mask:0xf// 000000004870: 0B5D5CFA FF015E0B
	v_mul_f32_dpp v175, v11, v175 row_newbcast:15 row_mask:0xf bank_mask:0xf// 000000004878: 0B5F5EFA FF015F0B
	v_cvt_pkrtz_f16_f32 v144, v144, v145                       // 000000004880: D2960090 00032390
	v_cvt_pkrtz_f16_f32 v145, v146, v147                       // 000000004888: D2960091 00032792
	v_cvt_pkrtz_f16_f32 v146, v148, v149                       // 000000004890: D2960092 00032B94
	v_cvt_pkrtz_f16_f32 v147, v150, v151                       // 000000004898: D2960093 00032F96
	v_cvt_pkrtz_f16_f32 v148, v152, v153                       // 0000000048A0: D2960094 00033398
	v_cvt_pkrtz_f16_f32 v149, v154, v155                       // 0000000048A8: D2960095 0003379A
	v_cvt_pkrtz_f16_f32 v150, v156, v157                       // 0000000048B0: D2960096 00033B9C
	v_cvt_pkrtz_f16_f32 v151, v158, v159                       // 0000000048B8: D2960097 00033F9E
	v_cvt_pkrtz_f16_f32 v152, v160, v161                       // 0000000048C0: D2960098 000343A0
	v_cvt_pkrtz_f16_f32 v153, v162, v163                       // 0000000048C8: D2960099 000347A2
	v_cvt_pkrtz_f16_f32 v154, v164, v165                       // 0000000048D0: D296009A 00034BA4
	v_cvt_pkrtz_f16_f32 v155, v166, v167                       // 0000000048D8: D296009B 00034FA6
	v_cvt_pkrtz_f16_f32 v156, v168, v169                       // 0000000048E0: D296009C 000353A8
	v_cvt_pkrtz_f16_f32 v157, v170, v171                       // 0000000048E8: D296009D 000357AA
	v_cvt_pkrtz_f16_f32 v158, v172, v173                       // 0000000048F0: D296009E 00035BAC
	v_cvt_pkrtz_f16_f32 v159, v174, v175                       // 0000000048F8: D296009F 00035FAE
	ds_write_b64 v3, v[144:145] offset:22784                   // 000000004900: D89A5900 00009003
	ds_write_b64 v3, v[146:147] offset:31488                   // 000000004908: D89A7B00 00009203
	ds_write_b64 v3, v[148:149] offset:24960                   // 000000004910: D89A6180 00009403
	ds_write_b64 v3, v[150:151] offset:33664                   // 000000004918: D89A8380 00009603
	ds_write_b64 v3, v[152:153] offset:27136                   // 000000004920: D89A6A00 00009803
	ds_write_b64 v3, v[154:155] offset:35840                   // 000000004928: D89A8C00 00009A03
	ds_write_b64 v3, v[156:157] offset:29312                   // 000000004930: D89A7280 00009C03
	ds_write_b64 v3, v[158:159] offset:38016                   // 000000004938: D89A9480 00009E03
	s_waitcnt lgkmcnt(0)                                       // 000000004940: BF8CC07F
	s_barrier                                                  // 000000004944: BF8A0000
	ds_read_b32 v64, v4 offset:22784                           // 000000004948: D86C5900 40000004
	ds_read_b32 v65, v4 offset:27136                           // 000000004950: D86C6A00 41000004
	ds_read_b32 v66, v4 offset:22816                           // 000000004958: D86C5920 42000004
	ds_read_b32 v67, v4 offset:27168                           // 000000004960: D86C6A20 43000004
	ds_read_b32 v68, v4 offset:22848                           // 000000004968: D86C5940 44000004
	ds_read_b32 v69, v4 offset:27200                           // 000000004970: D86C6A40 45000004
	ds_read_b32 v70, v4 offset:22880                           // 000000004978: D86C5960 46000004
	ds_read_b32 v71, v4 offset:27232                           // 000000004980: D86C6A60 47000004
	ds_read_b32 v72, v4 offset:31488                           // 000000004988: D86C7B00 48000004
	ds_read_b32 v73, v4 offset:35840                           // 000000004990: D86C8C00 49000004
	ds_read_b32 v74, v4 offset:31520                           // 000000004998: D86C7B20 4A000004
	ds_read_b32 v75, v4 offset:35872                           // 0000000049A0: D86C8C20 4B000004
	ds_read_b32 v76, v4 offset:31552                           // 0000000049A8: D86C7B40 4C000004
	ds_read_b32 v77, v4 offset:35904                           // 0000000049B0: D86C8C40 4D000004
	ds_read_b32 v78, v4 offset:31584                           // 0000000049B8: D86C7B60 4E000004
	ds_read_b32 v79, v4 offset:35936                           // 0000000049C0: D86C8C60 4F000004
	s_waitcnt lgkmcnt(0)                                       // 0000000049C8: BF8CC07F
	s_mov_b64 exec, s[20:21]                                   // 0000000049CC: BEFE0114
	global_atomic_pk_add_f16 v80, v64, s[8:9]                  // 0000000049D0: DD388000 00084050
	s_mov_b64 exec, s[36:37]                                   // 0000000049D8: BEFE0124
	s_mov_b64 exec, s[20:21]                                   // 0000000049DC: BEFE0114
	global_atomic_pk_add_f16 v80, v65, s[8:9] offset:256       // 0000000049E0: DD388100 00084150
	s_mov_b64 exec, s[36:37]                                   // 0000000049E8: BEFE0124
	s_mov_b64 exec, s[22:23]                                   // 0000000049EC: BEFE0116
	global_atomic_pk_add_f16 v82, v66, s[8:9]                  // 0000000049F0: DD388000 00084252
	s_mov_b64 exec, s[36:37]                                   // 0000000049F8: BEFE0124
	s_mov_b64 exec, s[22:23]                                   // 0000000049FC: BEFE0116
	global_atomic_pk_add_f16 v82, v67, s[8:9] offset:256       // 000000004A00: DD388100 00084352
	s_mov_b64 exec, s[36:37]                                   // 000000004A08: BEFE0124
	s_mov_b64 exec, s[24:25]                                   // 000000004A0C: BEFE0118
	global_atomic_pk_add_f16 v84, v68, s[8:9]                  // 000000004A10: DD388000 00084454
	s_mov_b64 exec, s[36:37]                                   // 000000004A18: BEFE0124
	s_mov_b64 exec, s[24:25]                                   // 000000004A1C: BEFE0118
	global_atomic_pk_add_f16 v84, v69, s[8:9] offset:256       // 000000004A20: DD388100 00084554
	s_mov_b64 exec, s[36:37]                                   // 000000004A28: BEFE0124
	s_mov_b64 exec, s[26:27]                                   // 000000004A2C: BEFE011A
	global_atomic_pk_add_f16 v86, v70, s[8:9]                  // 000000004A30: DD388000 00084656
	s_mov_b64 exec, s[36:37]                                   // 000000004A38: BEFE0124
	s_mov_b64 exec, s[26:27]                                   // 000000004A3C: BEFE011A
	global_atomic_pk_add_f16 v86, v71, s[8:9] offset:256       // 000000004A40: DD388100 00084756
	s_mov_b64 exec, s[36:37]                                   // 000000004A48: BEFE0124
	s_mov_b64 exec, s[28:29]                                   // 000000004A4C: BEFE011C
	global_atomic_pk_add_f16 v88, v72, s[8:9]                  // 000000004A50: DD388000 00084858
	s_mov_b64 exec, s[36:37]                                   // 000000004A58: BEFE0124
	s_mov_b64 exec, s[28:29]                                   // 000000004A5C: BEFE011C
	global_atomic_pk_add_f16 v88, v73, s[8:9] offset:256       // 000000004A60: DD388100 00084958
	s_mov_b64 exec, s[36:37]                                   // 000000004A68: BEFE0124
	s_mov_b64 exec, s[30:31]                                   // 000000004A6C: BEFE011E
	global_atomic_pk_add_f16 v90, v74, s[8:9]                  // 000000004A70: DD388000 00084A5A
	s_mov_b64 exec, s[36:37]                                   // 000000004A78: BEFE0124
	s_mov_b64 exec, s[30:31]                                   // 000000004A7C: BEFE011E
	global_atomic_pk_add_f16 v90, v75, s[8:9] offset:256       // 000000004A80: DD388100 00084B5A
	s_mov_b64 exec, s[36:37]                                   // 000000004A88: BEFE0124
	s_mov_b64 exec, s[32:33]                                   // 000000004A8C: BEFE0120
	global_atomic_pk_add_f16 v92, v76, s[8:9]                  // 000000004A90: DD388000 00084C5C
	s_mov_b64 exec, s[36:37]                                   // 000000004A98: BEFE0124
	s_mov_b64 exec, s[32:33]                                   // 000000004A9C: BEFE0120
	global_atomic_pk_add_f16 v92, v77, s[8:9] offset:256       // 000000004AA0: DD388100 00084D5C
	s_mov_b64 exec, s[36:37]                                   // 000000004AA8: BEFE0124
	s_mov_b64 exec, s[34:35]                                   // 000000004AAC: BEFE0122
	global_atomic_pk_add_f16 v94, v78, s[8:9]                  // 000000004AB0: DD388000 00084E5E
	s_mov_b64 exec, s[36:37]                                   // 000000004AB8: BEFE0124
	s_mov_b64 exec, s[34:35]                                   // 000000004ABC: BEFE0122
	global_atomic_pk_add_f16 v94, v79, s[8:9] offset:256       // 000000004AC0: DD388100 00084F5E
	s_mov_b64 exec, s[36:37]                                   // 000000004AC8: BEFE0124
	s_add_u32 s8, s59, s8                                      // 000000004ACC: 8008083B
	s_addc_u32 s9, 0, s9                                       // 000000004AD0: 82090980
	s_addk_i32 s80, 0x100                                      // 000000004AD4: B7500100
	s_cmp_lt_i32 s80, s81                                      // 000000004AD8: BF045150
	s_cbranch_scc0 label_0892                                  // 000000004ADC: BF84015A
	s_waitcnt vmcnt(21)                                        // 000000004AE0: BF8C4F75
	s_barrier                                                  // 000000004AE4: BF8A0000
	v_mfma_f32_16x16x32_fp8_fp8 v[176:179], a[32:33], v[128:129], 0// 000000004AE8: D3F300B0 0A030120
	v_mfma_f32_16x16x32_fp8_fp8 v[176:179], a[34:35], v[130:131], v[176:179]// 000000004AF0: D3F300B0 0EC30522
	buffer_load_dwordx4 a[0:3], v34, s[12:15], 0 offen         // 000000004AF8: E05C1000 80830022
	v_mfma_f32_16x16x32_fp8_fp8 v[180:183], a[32:33], v[136:137], 0// 000000004B00: D3F300B4 0A031120
	v_mfma_f32_16x16x32_fp8_fp8 v[180:183], a[34:35], v[138:139], v[180:183]// 000000004B08: D3F300B4 0ED31522
	v_mfma_f32_16x16x32_fp8_fp8 v[184:187], a[36:37], v[128:129], 0// 000000004B10: D3F300B8 0A030124
	v_mfma_f32_16x16x32_fp8_fp8 v[184:187], a[38:39], v[130:131], v[184:187]// 000000004B18: D3F300B8 0EE30526
	buffer_load_dwordx4 a[4:7], v35, s[12:15], 0 offen         // 000000004B20: E05C1000 80830423
	v_mfma_f32_16x16x32_fp8_fp8 v[188:191], a[36:37], v[136:137], 0// 000000004B28: D3F300BC 0A031124
	v_mfma_f32_16x16x32_fp8_fp8 v[188:191], a[38:39], v[138:139], v[188:191]// 000000004B30: D3F300BC 0EF31526
	v_mfma_f32_16x16x32_fp8_fp8 v[192:195], a[40:41], v[128:129], 0// 000000004B38: D3F300C0 0A030128
	v_mfma_f32_16x16x32_fp8_fp8 v[192:195], a[42:43], v[130:131], v[192:195]// 000000004B40: D3F300C0 0F03052A
	buffer_load_dwordx4 a[8:11], v36, s[12:15], 0 offen        // 000000004B48: E05C1000 80830824
	v_mfma_f32_16x16x32_fp8_fp8 v[196:199], a[40:41], v[136:137], 0// 000000004B50: D3F300C4 0A031128
	v_mfma_f32_16x16x32_fp8_fp8 v[196:199], a[42:43], v[138:139], v[196:199]// 000000004B58: D3F300C4 0F13152A
	v_mfma_f32_16x16x32_fp8_fp8 v[200:203], a[44:45], v[128:129], 0// 000000004B60: D3F300C8 0A03012C
	v_mfma_f32_16x16x32_fp8_fp8 v[200:203], a[46:47], v[130:131], v[200:203]// 000000004B68: D3F300C8 0F23052E
	buffer_load_dwordx4 a[12:15], v37, s[12:15], 0 offen       // 000000004B70: E05C1000 80830C25
	s_add_u32 s12, s78, s12                                    // 000000004B78: 800C0C4E
	s_addc_u32 s13, 0, s13                                     // 000000004B7C: 820D0D80
	v_mfma_f32_16x16x32_fp8_fp8 v[204:207], a[44:45], v[136:137], 0// 000000004B80: D3F300CC 0A03112C
	v_mfma_f32_16x16x32_fp8_fp8 v[204:207], a[46:47], v[138:139], v[204:207]// 000000004B88: D3F300CC 0F33152E
	s_waitcnt vmcnt(20)                                        // 000000004B90: BF8C4F74
	v_mfma_f32_16x16x32_fp8_fp8 v[176:179], a[48:49], v[132:133], v[176:179]// 000000004B94: D3F300B0 0EC30930
	v_mfma_f32_16x16x32_fp8_fp8 v[176:179], a[50:51], v[134:135], v[176:179]// 000000004B9C: D3F300B0 0EC30D32
	buffer_load_dwordx4 a[16:19], v34, s[12:15], 0 offen       // 000000004BA4: E05C1000 80831022
	v_mfma_f32_16x16x32_fp8_fp8 v[180:183], a[48:49], v[140:141], v[180:183]// 000000004BAC: D3F300B4 0ED31930
	v_mfma_f32_16x16x32_fp8_fp8 v[180:183], a[50:51], v[142:143], v[180:183]// 000000004BB4: D3F300B4 0ED31D32
	buffer_load_dword v11, v5, s[16:19], 0 offen               // 000000004BBC: E0501000 80040B05
	v_mfma_f32_16x16x32_fp8_fp8 v[184:187], a[52:53], v[132:133], v[184:187]// 000000004BC4: D3F300B8 0EE30934
	v_mfma_f32_16x16x32_fp8_fp8 v[184:187], a[54:55], v[134:135], v[184:187]// 000000004BCC: D3F300B8 0EE30D36
	buffer_load_dwordx4 a[20:23], v35, s[12:15], 0 offen       // 000000004BD4: E05C1000 80831423
	v_mfma_f32_16x16x32_fp8_fp8 v[188:191], a[52:53], v[140:141], v[188:191]// 000000004BDC: D3F300BC 0EF31934
	v_mfma_f32_16x16x32_fp8_fp8 v[188:191], a[54:55], v[142:143], v[188:191]// 000000004BE4: D3F300BC 0EF31D36
	v_mfma_f32_16x16x32_fp8_fp8 v[192:195], a[56:57], v[132:133], v[192:195]// 000000004BEC: D3F300C0 0F030938
	v_mfma_f32_16x16x32_fp8_fp8 v[192:195], a[58:59], v[134:135], v[192:195]// 000000004BF4: D3F300C0 0F030D3A
	buffer_load_dwordx4 a[24:27], v36, s[12:15], 0 offen       // 000000004BFC: E05C1000 80831824
	v_mfma_f32_16x16x32_fp8_fp8 v[196:199], a[56:57], v[140:141], v[196:199]// 000000004C04: D3F300C4 0F131938
	v_mfma_f32_16x16x32_fp8_fp8 v[196:199], a[58:59], v[142:143], v[196:199]// 000000004C0C: D3F300C4 0F131D3A
	v_mfma_f32_16x16x32_fp8_fp8 v[200:203], a[60:61], v[132:133], v[200:203]// 000000004C14: D3F300C8 0F23093C
	v_mfma_f32_16x16x32_fp8_fp8 v[200:203], a[62:63], v[134:135], v[200:203]// 000000004C1C: D3F300C8 0F230D3E
	buffer_load_dwordx4 a[28:31], v37, s[12:15], 0 offen       // 000000004C24: E05C1000 80831C25
	v_mfma_f32_16x16x32_fp8_fp8 v[204:207], a[60:61], v[140:141], v[204:207]// 000000004C2C: D3F300CC 0F33193C
	v_mfma_f32_16x16x32_fp8_fp8 v[204:207], a[62:63], v[142:143], v[204:207]// 000000004C34: D3F300CC 0F331D3E
	s_add_u32 s60, 0x200, s80                                  // 000000004C3C: 803C50FF 00000200
	s_cmp_lt_u32 s60, s81                                      // 000000004C44: BF0A513C
	s_cselect_b32 s56, s56, 0                                  // 000000004C48: 85388038
	s_cselect_b32 s78, s78, 0                                  // 000000004C4C: 854E804E
	s_cselect_b32 s79, s79, 0                                  // 000000004C50: 854F804F
	s_add_u32 s12, s56, s12                                    // 000000004C54: 800C0C38
	s_addc_u32 s13, 0, s13                                     // 000000004C58: 820D0D80
	s_add_u32 s16, s79, s16                                    // 000000004C5C: 8010104F
	s_addc_u32 s17, 0, s17                                     // 000000004C60: 82111180
	v_mul_f32_e32 v176, v22, v176                              // 000000004C64: 0B616116
	v_mul_f32_e32 v177, v22, v177                              // 000000004C68: 0B636316
	v_mul_f32_e32 v178, v22, v178                              // 000000004C6C: 0B656516
	v_mul_f32_e32 v179, v22, v179                              // 000000004C70: 0B676716
	v_mul_f32_dpp v176, v12, v176 row_newbcast:0 row_mask:0xf bank_mask:0xf// 000000004C74: 0B6160FA FF01500C
	v_mul_f32_dpp v177, v12, v177 row_newbcast:1 row_mask:0xf bank_mask:0xf// 000000004C7C: 0B6362FA FF01510C
	v_mul_f32_dpp v178, v12, v178 row_newbcast:2 row_mask:0xf bank_mask:0xf// 000000004C84: 0B6564FA FF01520C
	v_mul_f32_dpp v179, v12, v179 row_newbcast:3 row_mask:0xf bank_mask:0xf// 000000004C8C: 0B6766FA FF01530C
	v_mul_f32_e32 v180, v23, v180                              // 000000004C94: 0B696917
	v_mul_f32_e32 v181, v23, v181                              // 000000004C98: 0B6B6B17
	v_mul_f32_e32 v182, v23, v182                              // 000000004C9C: 0B6D6D17
	v_mul_f32_e32 v183, v23, v183                              // 000000004CA0: 0B6F6F17
	v_mul_f32_dpp v180, v12, v180 row_newbcast:0 row_mask:0xf bank_mask:0xf// 000000004CA4: 0B6968FA FF01500C
	v_mul_f32_dpp v181, v12, v181 row_newbcast:1 row_mask:0xf bank_mask:0xf// 000000004CAC: 0B6B6AFA FF01510C
	v_mul_f32_dpp v182, v12, v182 row_newbcast:2 row_mask:0xf bank_mask:0xf// 000000004CB4: 0B6D6CFA FF01520C
	v_mul_f32_dpp v183, v12, v183 row_newbcast:3 row_mask:0xf bank_mask:0xf// 000000004CBC: 0B6F6EFA FF01530C
	v_mul_f32_e32 v184, v22, v184                              // 000000004CC4: 0B717116
	v_mul_f32_e32 v185, v22, v185                              // 000000004CC8: 0B737316
	v_mul_f32_e32 v186, v22, v186                              // 000000004CCC: 0B757516
	v_mul_f32_e32 v187, v22, v187                              // 000000004CD0: 0B777716
	v_mul_f32_dpp v184, v12, v184 row_newbcast:4 row_mask:0xf bank_mask:0xf// 000000004CD4: 0B7170FA FF01540C
	v_mul_f32_dpp v185, v12, v185 row_newbcast:5 row_mask:0xf bank_mask:0xf// 000000004CDC: 0B7372FA FF01550C
	v_mul_f32_dpp v186, v12, v186 row_newbcast:6 row_mask:0xf bank_mask:0xf// 000000004CE4: 0B7574FA FF01560C
	v_mul_f32_dpp v187, v12, v187 row_newbcast:7 row_mask:0xf bank_mask:0xf// 000000004CEC: 0B7776FA FF01570C
	v_mul_f32_e32 v188, v23, v188                              // 000000004CF4: 0B797917
	v_mul_f32_e32 v189, v23, v189                              // 000000004CF8: 0B7B7B17
	v_mul_f32_e32 v190, v23, v190                              // 000000004CFC: 0B7D7D17
	v_mul_f32_e32 v191, v23, v191                              // 000000004D00: 0B7F7F17
	v_mul_f32_dpp v188, v12, v188 row_newbcast:4 row_mask:0xf bank_mask:0xf// 000000004D04: 0B7978FA FF01540C
	v_mul_f32_dpp v189, v12, v189 row_newbcast:5 row_mask:0xf bank_mask:0xf// 000000004D0C: 0B7B7AFA FF01550C
	v_mul_f32_dpp v190, v12, v190 row_newbcast:6 row_mask:0xf bank_mask:0xf// 000000004D14: 0B7D7CFA FF01560C
	v_mul_f32_dpp v191, v12, v191 row_newbcast:7 row_mask:0xf bank_mask:0xf// 000000004D1C: 0B7F7EFA FF01570C
	v_mul_f32_e32 v192, v22, v192                              // 000000004D24: 0B818116
	v_mul_f32_e32 v193, v22, v193                              // 000000004D28: 0B838316
	v_mul_f32_e32 v194, v22, v194                              // 000000004D2C: 0B858516
	v_mul_f32_e32 v195, v22, v195                              // 000000004D30: 0B878716
	v_mul_f32_dpp v192, v12, v192 row_newbcast:8 row_mask:0xf bank_mask:0xf// 000000004D34: 0B8180FA FF01580C
	v_mul_f32_dpp v193, v12, v193 row_newbcast:9 row_mask:0xf bank_mask:0xf// 000000004D3C: 0B8382FA FF01590C
	v_mul_f32_dpp v194, v12, v194 row_newbcast:10 row_mask:0xf bank_mask:0xf// 000000004D44: 0B8584FA FF015A0C
	v_mul_f32_dpp v195, v12, v195 row_newbcast:11 row_mask:0xf bank_mask:0xf// 000000004D4C: 0B8786FA FF015B0C
	v_mul_f32_e32 v196, v23, v196                              // 000000004D54: 0B898917
	v_mul_f32_e32 v197, v23, v197                              // 000000004D58: 0B8B8B17
	v_mul_f32_e32 v198, v23, v198                              // 000000004D5C: 0B8D8D17
	v_mul_f32_e32 v199, v23, v199                              // 000000004D60: 0B8F8F17
	v_mul_f32_dpp v196, v12, v196 row_newbcast:8 row_mask:0xf bank_mask:0xf// 000000004D64: 0B8988FA FF01580C
	v_mul_f32_dpp v197, v12, v197 row_newbcast:9 row_mask:0xf bank_mask:0xf// 000000004D6C: 0B8B8AFA FF01590C
	v_mul_f32_dpp v198, v12, v198 row_newbcast:10 row_mask:0xf bank_mask:0xf// 000000004D74: 0B8D8CFA FF015A0C
	v_mul_f32_dpp v199, v12, v199 row_newbcast:11 row_mask:0xf bank_mask:0xf// 000000004D7C: 0B8F8EFA FF015B0C
	v_mul_f32_e32 v200, v22, v200                              // 000000004D84: 0B919116
	v_mul_f32_e32 v201, v22, v201                              // 000000004D88: 0B939316
	v_mul_f32_e32 v202, v22, v202                              // 000000004D8C: 0B959516
	v_mul_f32_e32 v203, v22, v203                              // 000000004D90: 0B979716
	v_mul_f32_dpp v200, v12, v200 row_newbcast:12 row_mask:0xf bank_mask:0xf// 000000004D94: 0B9190FA FF015C0C
	v_mul_f32_dpp v201, v12, v201 row_newbcast:13 row_mask:0xf bank_mask:0xf// 000000004D9C: 0B9392FA FF015D0C
	v_mul_f32_dpp v202, v12, v202 row_newbcast:14 row_mask:0xf bank_mask:0xf// 000000004DA4: 0B9594FA FF015E0C
	v_mul_f32_dpp v203, v12, v203 row_newbcast:15 row_mask:0xf bank_mask:0xf// 000000004DAC: 0B9796FA FF015F0C
	v_mul_f32_e32 v204, v23, v204                              // 000000004DB4: 0B999917
	v_mul_f32_e32 v205, v23, v205                              // 000000004DB8: 0B9B9B17
	v_mul_f32_e32 v206, v23, v206                              // 000000004DBC: 0B9D9D17
	v_mul_f32_e32 v207, v23, v207                              // 000000004DC0: 0B9F9F17
	v_mul_f32_dpp v204, v12, v204 row_newbcast:12 row_mask:0xf bank_mask:0xf// 000000004DC4: 0B9998FA FF015C0C
	v_mul_f32_dpp v205, v12, v205 row_newbcast:13 row_mask:0xf bank_mask:0xf// 000000004DCC: 0B9B9AFA FF015D0C
	v_mul_f32_dpp v206, v12, v206 row_newbcast:14 row_mask:0xf bank_mask:0xf// 000000004DD4: 0B9D9CFA FF015E0C
	v_mul_f32_dpp v207, v12, v207 row_newbcast:15 row_mask:0xf bank_mask:0xf// 000000004DDC: 0B9F9EFA FF015F0C
	v_cvt_pkrtz_f16_f32 v176, v176, v177                       // 000000004DE4: D29600B0 000363B0
	v_cvt_pkrtz_f16_f32 v177, v178, v179                       // 000000004DEC: D29600B1 000367B2
	v_cvt_pkrtz_f16_f32 v178, v180, v181                       // 000000004DF4: D29600B2 00036BB4
	v_cvt_pkrtz_f16_f32 v179, v182, v183                       // 000000004DFC: D29600B3 00036FB6
	v_cvt_pkrtz_f16_f32 v180, v184, v185                       // 000000004E04: D29600B4 000373B8
	v_cvt_pkrtz_f16_f32 v181, v186, v187                       // 000000004E0C: D29600B5 000377BA
	v_cvt_pkrtz_f16_f32 v182, v188, v189                       // 000000004E14: D29600B6 00037BBC
	v_cvt_pkrtz_f16_f32 v183, v190, v191                       // 000000004E1C: D29600B7 00037FBE
	v_cvt_pkrtz_f16_f32 v184, v192, v193                       // 000000004E24: D29600B8 000383C0
	v_cvt_pkrtz_f16_f32 v185, v194, v195                       // 000000004E2C: D29600B9 000387C2
	v_cvt_pkrtz_f16_f32 v186, v196, v197                       // 000000004E34: D29600BA 00038BC4
	v_cvt_pkrtz_f16_f32 v187, v198, v199                       // 000000004E3C: D29600BB 00038FC6
	v_cvt_pkrtz_f16_f32 v188, v200, v201                       // 000000004E44: D29600BC 000393C8
	v_cvt_pkrtz_f16_f32 v189, v202, v203                       // 000000004E4C: D29600BD 000397CA
	v_cvt_pkrtz_f16_f32 v190, v204, v205                       // 000000004E54: D29600BE 00039BCC
	v_cvt_pkrtz_f16_f32 v191, v206, v207                       // 000000004E5C: D29600BF 00039FCE
	ds_write_b64 v3, v[176:177] offset:22784                   // 000000004E64: D89A5900 0000B003
	ds_write_b64 v3, v[178:179] offset:31488                   // 000000004E6C: D89A7B00 0000B203
	ds_write_b64 v3, v[180:181] offset:24960                   // 000000004E74: D89A6180 0000B403
	ds_write_b64 v3, v[182:183] offset:33664                   // 000000004E7C: D89A8380 0000B603
	ds_write_b64 v3, v[184:185] offset:27136                   // 000000004E84: D89A6A00 0000B803
	ds_write_b64 v3, v[186:187] offset:35840                   // 000000004E8C: D89A8C00 0000BA03
	ds_write_b64 v3, v[188:189] offset:29312                   // 000000004E94: D89A7280 0000BC03
	ds_write_b64 v3, v[190:191] offset:38016                   // 000000004E9C: D89A9480 0000BE03
	s_waitcnt lgkmcnt(0)                                       // 000000004EA4: BF8CC07F
	s_barrier                                                  // 000000004EA8: BF8A0000
	ds_read_b32 v64, v4 offset:22784                           // 000000004EAC: D86C5900 40000004
	ds_read_b32 v65, v4 offset:27136                           // 000000004EB4: D86C6A00 41000004
	ds_read_b32 v66, v4 offset:22816                           // 000000004EBC: D86C5920 42000004
	ds_read_b32 v67, v4 offset:27168                           // 000000004EC4: D86C6A20 43000004
	ds_read_b32 v68, v4 offset:22848                           // 000000004ECC: D86C5940 44000004
	ds_read_b32 v69, v4 offset:27200                           // 000000004ED4: D86C6A40 45000004
	ds_read_b32 v70, v4 offset:22880                           // 000000004EDC: D86C5960 46000004
	ds_read_b32 v71, v4 offset:27232                           // 000000004EE4: D86C6A60 47000004
	ds_read_b32 v72, v4 offset:31488                           // 000000004EEC: D86C7B00 48000004
	ds_read_b32 v73, v4 offset:35840                           // 000000004EF4: D86C8C00 49000004
	ds_read_b32 v74, v4 offset:31520                           // 000000004EFC: D86C7B20 4A000004
	ds_read_b32 v75, v4 offset:35872                           // 000000004F04: D86C8C20 4B000004
	ds_read_b32 v76, v4 offset:31552                           // 000000004F0C: D86C7B40 4C000004
	ds_read_b32 v77, v4 offset:35904                           // 000000004F14: D86C8C40 4D000004
	ds_read_b32 v78, v4 offset:31584                           // 000000004F1C: D86C7B60 4E000004
	ds_read_b32 v79, v4 offset:35936                           // 000000004F24: D86C8C60 4F000004
	s_waitcnt lgkmcnt(0)                                       // 000000004F2C: BF8CC07F
	s_mov_b64 exec, s[20:21]                                   // 000000004F30: BEFE0114
	global_atomic_pk_add_f16 v80, v64, s[8:9]                  // 000000004F34: DD388000 00084050
	s_mov_b64 exec, s[36:37]                                   // 000000004F3C: BEFE0124
	s_mov_b64 exec, s[20:21]                                   // 000000004F40: BEFE0114
	global_atomic_pk_add_f16 v80, v65, s[8:9] offset:256       // 000000004F44: DD388100 00084150
	s_mov_b64 exec, s[36:37]                                   // 000000004F4C: BEFE0124
	s_mov_b64 exec, s[22:23]                                   // 000000004F50: BEFE0116
	global_atomic_pk_add_f16 v82, v66, s[8:9]                  // 000000004F54: DD388000 00084252
	s_mov_b64 exec, s[36:37]                                   // 000000004F5C: BEFE0124
	s_mov_b64 exec, s[22:23]                                   // 000000004F60: BEFE0116
	global_atomic_pk_add_f16 v82, v67, s[8:9] offset:256       // 000000004F64: DD388100 00084352
	s_mov_b64 exec, s[36:37]                                   // 000000004F6C: BEFE0124
	s_mov_b64 exec, s[24:25]                                   // 000000004F70: BEFE0118
	global_atomic_pk_add_f16 v84, v68, s[8:9]                  // 000000004F74: DD388000 00084454
	s_mov_b64 exec, s[36:37]                                   // 000000004F7C: BEFE0124
	s_mov_b64 exec, s[24:25]                                   // 000000004F80: BEFE0118
	global_atomic_pk_add_f16 v84, v69, s[8:9] offset:256       // 000000004F84: DD388100 00084554
	s_mov_b64 exec, s[36:37]                                   // 000000004F8C: BEFE0124
	s_mov_b64 exec, s[26:27]                                   // 000000004F90: BEFE011A
	global_atomic_pk_add_f16 v86, v70, s[8:9]                  // 000000004F94: DD388000 00084656
	s_mov_b64 exec, s[36:37]                                   // 000000004F9C: BEFE0124
	s_mov_b64 exec, s[26:27]                                   // 000000004FA0: BEFE011A
	global_atomic_pk_add_f16 v86, v71, s[8:9] offset:256       // 000000004FA4: DD388100 00084756
	s_mov_b64 exec, s[36:37]                                   // 000000004FAC: BEFE0124
	s_mov_b64 exec, s[28:29]                                   // 000000004FB0: BEFE011C
	global_atomic_pk_add_f16 v88, v72, s[8:9]                  // 000000004FB4: DD388000 00084858
	s_mov_b64 exec, s[36:37]                                   // 000000004FBC: BEFE0124
	s_mov_b64 exec, s[28:29]                                   // 000000004FC0: BEFE011C
	global_atomic_pk_add_f16 v88, v73, s[8:9] offset:256       // 000000004FC4: DD388100 00084958
	s_mov_b64 exec, s[36:37]                                   // 000000004FCC: BEFE0124
	s_mov_b64 exec, s[30:31]                                   // 000000004FD0: BEFE011E
	global_atomic_pk_add_f16 v90, v74, s[8:9]                  // 000000004FD4: DD388000 00084A5A
	s_mov_b64 exec, s[36:37]                                   // 000000004FDC: BEFE0124
	s_mov_b64 exec, s[30:31]                                   // 000000004FE0: BEFE011E
	global_atomic_pk_add_f16 v90, v75, s[8:9] offset:256       // 000000004FE4: DD388100 00084B5A
	s_mov_b64 exec, s[36:37]                                   // 000000004FEC: BEFE0124
	s_mov_b64 exec, s[32:33]                                   // 000000004FF0: BEFE0120
	global_atomic_pk_add_f16 v92, v76, s[8:9]                  // 000000004FF4: DD388000 00084C5C
	s_mov_b64 exec, s[36:37]                                   // 000000004FFC: BEFE0124
	s_mov_b64 exec, s[32:33]                                   // 000000005000: BEFE0120
	global_atomic_pk_add_f16 v92, v77, s[8:9] offset:256       // 000000005004: DD388100 00084D5C
	s_mov_b64 exec, s[36:37]                                   // 00000000500C: BEFE0124
	s_mov_b64 exec, s[34:35]                                   // 000000005010: BEFE0122
	global_atomic_pk_add_f16 v94, v78, s[8:9]                  // 000000005014: DD388000 00084E5E
	s_mov_b64 exec, s[36:37]                                   // 00000000501C: BEFE0124
	s_mov_b64 exec, s[34:35]                                   // 000000005020: BEFE0122
	global_atomic_pk_add_f16 v94, v79, s[8:9] offset:256       // 000000005024: DD388100 00084F5E
	s_mov_b64 exec, s[36:37]                                   // 00000000502C: BEFE0124
	s_add_u32 s8, s59, s8                                      // 000000005030: 8008083B
	s_addc_u32 s9, 0, s9                                       // 000000005034: 82090980
	s_addk_i32 s80, 0x100                                      // 000000005038: B7500100
	s_cmp_lt_i32 s80, s81                                      // 00000000503C: BF045150
	s_cbranch_scc0 label_0892                                  // 000000005040: BF840001
	s_branch label_05DF                                        // 000000005044: BF82FD4D

0000000000005048 <label_0892>:
	s_nop 0                                                    // 000000005048: BF800000
	s_nop 0                                                    // 00000000504C: BF800000
	s_branch label_0F15                                        // 000000005050: BF820680

0000000000005054 <label_0895>:
	s_waitcnt vmcnt(0) lgkmcnt(0)                              // 000000005054: BF8C0070
	s_barrier                                                  // 000000005058: BF8A0000
	v_mfma_f32_16x16x32_fp8_fp8 v[128:131], a[0:1], v[144:145], v[128:131]// 00000000505C: D3F30080 0E032100
	buffer_load_dwordx4 a[32:35], v32, s[92:95], 0 offen       // 000000005064: E05C1000 80972020
	v_mfma_f32_16x16x32_fp8_fp8 v[128:131], a[2:3], v[146:147], v[128:131]// 00000000506C: D3F30080 0E032502
	v_mfma_f32_16x16x32_fp8_fp8 v[128:131], a[4:5], v[148:149], v[128:131]// 000000005074: D3F30080 0E032904
	buffer_load_dword v24, s[20:23], 0 offen lds               // 00000000507C: E0511000 80050018
	s_add_u32 m0, 0x100, s51                                   // 000000005084: 807C33FF 00000100
	v_mfma_f32_16x16x32_fp8_fp8 v[128:131], a[6:7], v[150:151], v[128:131]// 00000000508C: D3F30080 0E032D06
	v_mfma_f32_16x16x32_fp8_fp8 v[128:131], a[8:9], v[152:153], v[128:131]// 000000005094: D3F30080 0E033108
	buffer_load_dwordx4 a[36:39], v32, s[92:95], 0 offen offset:1024// 00000000509C: E05C1400 80972420
	v_mfma_f32_16x16x32_fp8_fp8 v[128:131], a[10:11], v[154:155], v[128:131]// 0000000050A4: D3F30080 0E03350A
	v_mfma_f32_16x16x32_fp8_fp8 v[128:131], a[12:13], v[156:157], v[128:131]// 0000000050AC: D3F30080 0E03390C
	buffer_load_dword v25, s[20:23], 0 offen lds               // 0000000050B4: E0511000 80050019
	s_add_u32 m0, 0x200, s51                                   // 0000000050BC: 807C33FF 00000200
	v_mfma_f32_16x16x32_fp8_fp8 v[128:131], a[14:15], v[158:159], v[128:131]// 0000000050C4: D3F30080 0E033D0E
	v_mfma_f32_16x16x32_fp8_fp8 v[132:135], a[0:1], v[160:161], v[132:135]// 0000000050CC: D3F30084 0E134100
	buffer_load_dwordx4 a[40:43], v32, s[92:95], 0 offen offset:2048// 0000000050D4: E05C1800 80972820
	v_mfma_f32_16x16x32_fp8_fp8 v[132:135], a[2:3], v[162:163], v[132:135]// 0000000050DC: D3F30084 0E134502
	v_mfma_f32_16x16x32_fp8_fp8 v[132:135], a[4:5], v[164:165], v[132:135]// 0000000050E4: D3F30084 0E134904
	buffer_load_dword v26, s[20:23], 0 offen lds               // 0000000050EC: E0511000 8005001A
	s_add_u32 m0, 0x300, s51                                   // 0000000050F4: 807C33FF 00000300
	v_mfma_f32_16x16x32_fp8_fp8 v[132:135], a[6:7], v[166:167], v[132:135]// 0000000050FC: D3F30084 0E134D06
	v_mfma_f32_16x16x32_fp8_fp8 v[132:135], a[8:9], v[168:169], v[132:135]// 000000005104: D3F30084 0E135108
	buffer_load_dwordx4 a[44:47], v32, s[92:95], 0 offen offset:3072// 00000000510C: E05C1C00 80972C20
	v_mfma_f32_16x16x32_fp8_fp8 v[132:135], a[10:11], v[170:171], v[132:135]// 000000005114: D3F30084 0E13550A
	v_mfma_f32_16x16x32_fp8_fp8 v[132:135], a[12:13], v[172:173], v[132:135]// 00000000511C: D3F30084 0E13590C
	buffer_load_dword v27, s[20:23], 0 offen lds               // 000000005124: E0511000 8005001B
	s_add_u32 m0, 0x400, s51                                   // 00000000512C: 807C33FF 00000400
	v_mfma_f32_16x16x32_fp8_fp8 v[132:135], a[14:15], v[174:175], v[132:135]// 000000005134: D3F30084 0E135D0E
	v_mfma_f32_16x16x32_fp8_fp8 v[136:139], a[16:17], v[144:145], v[136:139]// 00000000513C: D3F30088 0E232110
	buffer_load_dwordx4 a[48:51], v33, s[92:95], 0 offen       // 000000005144: E05C1000 80973021
	v_mfma_f32_16x16x32_fp8_fp8 v[136:139], a[18:19], v[146:147], v[136:139]// 00000000514C: D3F30088 0E232512
	v_mfma_f32_16x16x32_fp8_fp8 v[136:139], a[20:21], v[148:149], v[136:139]// 000000005154: D3F30088 0E232914
	buffer_load_dword v28, s[20:23], 0 offen lds               // 00000000515C: E0511000 8005001C
	s_add_u32 m0, 0x500, s51                                   // 000000005164: 807C33FF 00000500
	v_mfma_f32_16x16x32_fp8_fp8 v[136:139], a[22:23], v[150:151], v[136:139]// 00000000516C: D3F30088 0E232D16
	v_mfma_f32_16x16x32_fp8_fp8 v[136:139], a[24:25], v[152:153], v[136:139]// 000000005174: D3F30088 0E233118
	buffer_load_dwordx4 a[52:55], v33, s[92:95], 0 offen offset:1024// 00000000517C: E05C1400 80973421
	v_mfma_f32_16x16x32_fp8_fp8 v[136:139], a[26:27], v[154:155], v[136:139]// 000000005184: D3F30088 0E23351A
	v_mfma_f32_16x16x32_fp8_fp8 v[136:139], a[28:29], v[156:157], v[136:139]// 00000000518C: D3F30088 0E23391C
	buffer_load_dword v29, s[20:23], 0 offen lds               // 000000005194: E0511000 8005001D
	s_add_u32 m0, 0x600, s51                                   // 00000000519C: 807C33FF 00000600
	v_mfma_f32_16x16x32_fp8_fp8 v[136:139], a[30:31], v[158:159], v[136:139]// 0000000051A4: D3F30088 0E233D1E
	v_mfma_f32_16x16x32_fp8_fp8 v[140:143], a[16:17], v[160:161], v[140:143]// 0000000051AC: D3F3008C 0E334110
	buffer_load_dwordx4 a[56:59], v33, s[92:95], 0 offen offset:2048// 0000000051B4: E05C1800 80973821
	v_mfma_f32_16x16x32_fp8_fp8 v[140:143], a[18:19], v[162:163], v[140:143]// 0000000051BC: D3F3008C 0E334512
	v_mfma_f32_16x16x32_fp8_fp8 v[140:143], a[20:21], v[164:165], v[140:143]// 0000000051C4: D3F3008C 0E334914
	buffer_load_dword v30, s[20:23], 0 offen lds               // 0000000051CC: E0511000 8005001E
	s_add_u32 m0, 0x700, s51                                   // 0000000051D4: 807C33FF 00000700
	v_mfma_f32_16x16x32_fp8_fp8 v[140:143], a[22:23], v[166:167], v[140:143]// 0000000051DC: D3F3008C 0E334D16
	v_mfma_f32_16x16x32_fp8_fp8 v[140:143], a[24:25], v[168:169], v[140:143]// 0000000051E4: D3F3008C 0E335118
	buffer_load_dwordx4 a[60:63], v33, s[92:95], 0 offen offset:3072// 0000000051EC: E05C1C00 80973C21
	v_mfma_f32_16x16x32_fp8_fp8 v[140:143], a[26:27], v[170:171], v[140:143]// 0000000051F4: D3F3008C 0E33551A
	v_mfma_f32_16x16x32_fp8_fp8 v[140:143], a[28:29], v[172:173], v[140:143]// 0000000051FC: D3F3008C 0E33591C
	buffer_load_dword v31, s[20:23], 0 offen lds               // 000000005204: E0511000 8005001F
	s_add_u32 m0, 0, s50                                       // 00000000520C: 807C3280
	v_mfma_f32_16x16x32_fp8_fp8 v[140:143], a[30:31], v[174:175], v[140:143]// 000000005210: D3F3008C 0E335D1E
	s_waitcnt vmcnt(0)                                         // 000000005218: BF8C0F70
	s_barrier                                                  // 00000000521C: BF8A0000
	v_mfma_f32_16x16x32_fp8_fp8 v[64:67], a[32:33], v[144:145], v[64:67]// 000000005220: D3F30040 0D032120
	buffer_load_dwordx4 a[0:3], v32, s[24:27], 0 offen         // 000000005228: E05C1000 80860020
	v_mfma_f32_16x16x32_fp8_fp8 v[64:67], a[34:35], v[146:147], v[64:67]// 000000005230: D3F30040 0D032522
	v_mfma_f32_16x16x32_fp8_fp8 v[64:67], a[36:37], v[148:149], v[64:67]// 000000005238: D3F30040 0D032924
	ds_read_b128 v[176:179], v2 offset:8320                    // 000000005240: D9FE2080 B0000002
	v_mfma_f32_16x16x32_fp8_fp8 v[64:67], a[38:39], v[150:151], v[64:67]// 000000005248: D3F30040 0D032D26
	v_mfma_f32_16x16x32_fp8_fp8 v[64:67], a[40:41], v[152:153], v[64:67]// 000000005250: D3F30040 0D033128
	buffer_load_dwordx4 a[4:7], v32, s[24:27], 0 offen offset:1024// 000000005258: E05C1400 80860420
	v_mfma_f32_16x16x32_fp8_fp8 v[64:67], a[42:43], v[154:155], v[64:67]// 000000005260: D3F30040 0D03352A
	v_mfma_f32_16x16x32_fp8_fp8 v[64:67], a[44:45], v[156:157], v[64:67]// 000000005268: D3F30040 0D03392C
	ds_read_b128 v[180:183], v2 offset:8384                    // 000000005270: D9FE20C0 B4000002
	v_mfma_f32_16x16x32_fp8_fp8 v[64:67], a[46:47], v[158:159], v[64:67]// 000000005278: D3F30040 0D033D2E
	v_mfma_f32_16x16x32_fp8_fp8 v[68:71], a[32:33], v[160:161], v[68:71]// 000000005280: D3F30044 0D134120
	buffer_load_dwordx4 a[8:11], v32, s[24:27], 0 offen offset:2048// 000000005288: E05C1800 80860820
	v_mfma_f32_16x16x32_fp8_fp8 v[68:71], a[34:35], v[162:163], v[68:71]// 000000005290: D3F30044 0D134522
	v_mfma_f32_16x16x32_fp8_fp8 v[68:71], a[36:37], v[164:165], v[68:71]// 000000005298: D3F30044 0D134924
	ds_read_b128 v[184:187], v2 offset:8448                    // 0000000052A0: D9FE2100 B8000002
	v_mfma_f32_16x16x32_fp8_fp8 v[68:71], a[38:39], v[166:167], v[68:71]// 0000000052A8: D3F30044 0D134D26
	v_mfma_f32_16x16x32_fp8_fp8 v[68:71], a[40:41], v[168:169], v[68:71]// 0000000052B0: D3F30044 0D135128
	buffer_load_dwordx4 a[12:15], v32, s[24:27], 0 offen offset:3072// 0000000052B8: E05C1C00 80860C20
	v_mfma_f32_16x16x32_fp8_fp8 v[68:71], a[42:43], v[170:171], v[68:71]// 0000000052C0: D3F30044 0D13552A
	v_mfma_f32_16x16x32_fp8_fp8 v[68:71], a[44:45], v[172:173], v[68:71]// 0000000052C8: D3F30044 0D13592C
	ds_read_b128 v[188:191], v2 offset:8512                    // 0000000052D0: D9FE2140 BC000002
	v_mfma_f32_16x16x32_fp8_fp8 v[68:71], a[46:47], v[174:175], v[68:71]// 0000000052D8: D3F30044 0D135D2E
	v_mfma_f32_16x16x32_fp8_fp8 v[72:75], a[48:49], v[144:145], v[72:75]// 0000000052E0: D3F30048 0D232130
	buffer_load_dwordx4 a[16:19], v33, s[24:27], 0 offen       // 0000000052E8: E05C1000 80861021
	v_mfma_f32_16x16x32_fp8_fp8 v[72:75], a[50:51], v[146:147], v[72:75]// 0000000052F0: D3F30048 0D232532
	v_mfma_f32_16x16x32_fp8_fp8 v[72:75], a[52:53], v[148:149], v[72:75]// 0000000052F8: D3F30048 0D232934
	ds_read_b128 v[192:195], v2 offset:9344                    // 000000005300: D9FE2480 C0000002
	v_mfma_f32_16x16x32_fp8_fp8 v[72:75], a[54:55], v[150:151], v[72:75]// 000000005308: D3F30048 0D232D36
	v_mfma_f32_16x16x32_fp8_fp8 v[72:75], a[56:57], v[152:153], v[72:75]// 000000005310: D3F30048 0D233138
	buffer_load_dwordx4 a[20:23], v33, s[24:27], 0 offen offset:1024// 000000005318: E05C1400 80861421
	v_mfma_f32_16x16x32_fp8_fp8 v[72:75], a[58:59], v[154:155], v[72:75]// 000000005320: D3F30048 0D23353A
	v_mfma_f32_16x16x32_fp8_fp8 v[72:75], a[60:61], v[156:157], v[72:75]// 000000005328: D3F30048 0D23393C
	ds_read_b128 v[196:199], v2 offset:9408                    // 000000005330: D9FE24C0 C4000002
	v_mfma_f32_16x16x32_fp8_fp8 v[72:75], a[62:63], v[158:159], v[72:75]// 000000005338: D3F30048 0D233D3E
	v_mfma_f32_16x16x32_fp8_fp8 v[76:79], a[48:49], v[160:161], v[76:79]// 000000005340: D3F3004C 0D334130
	buffer_load_dwordx4 a[24:27], v33, s[24:27], 0 offen offset:2048// 000000005348: E05C1800 80861821
	v_mfma_f32_16x16x32_fp8_fp8 v[76:79], a[50:51], v[162:163], v[76:79]// 000000005350: D3F3004C 0D334532
	v_mfma_f32_16x16x32_fp8_fp8 v[76:79], a[52:53], v[164:165], v[76:79]// 000000005358: D3F3004C 0D334934
	ds_read_b128 v[200:203], v2 offset:9472                    // 000000005360: D9FE2500 C8000002
	v_mfma_f32_16x16x32_fp8_fp8 v[76:79], a[54:55], v[166:167], v[76:79]// 000000005368: D3F3004C 0D334D36
	v_mfma_f32_16x16x32_fp8_fp8 v[76:79], a[56:57], v[168:169], v[76:79]// 000000005370: D3F3004C 0D335138
	buffer_load_dwordx4 a[28:31], v33, s[24:27], 0 offen offset:3072// 000000005378: E05C1C00 80861C21
	v_mfma_f32_16x16x32_fp8_fp8 v[76:79], a[58:59], v[170:171], v[76:79]// 000000005380: D3F3004C 0D33553A
	v_mfma_f32_16x16x32_fp8_fp8 v[76:79], a[60:61], v[172:173], v[76:79]// 000000005388: D3F3004C 0D33593C
	ds_read_b128 v[204:207], v2 offset:9536                    // 000000005390: D9FE2540 CC000002
	v_mfma_f32_16x16x32_fp8_fp8 v[76:79], a[62:63], v[174:175], v[76:79]// 000000005398: D3F3004C 0D335D3E
	s_add_u32 s60, 0x200, s80                                  // 0000000053A0: 803C50FF 00000200
	s_cmp_lt_u32 s60, s81                                      // 0000000053A8: BF0A513C
	s_cselect_b32 s57, s57, 0                                  // 0000000053AC: 85398039
	s_add_u32 s60, 0x200, s80                                  // 0000000053B0: 803C50FF 00000200
	s_cmp_lt_u32 s60, s81                                      // 0000000053B8: BF0A513C
	s_cselect_b32 s58, s58, 0                                  // 0000000053BC: 853A803A
	s_add_u32 s20, s57, s20                                    // 0000000053C0: 80141439
	s_addc_u32 s21, 0, s21                                     // 0000000053C4: 82151580
	s_add_u32 s24, s58, s24                                    // 0000000053C8: 8018183A
	s_addc_u32 s25, 0, s25                                     // 0000000053CC: 82191980
	s_add_u32 s92, s90, s92                                    // 0000000053D0: 805C5C5A
	s_addc_u32 s93, 0, s93                                     // 0000000053D4: 825D5D80
	s_addk_i32 s80, 0x100                                      // 0000000053D8: B7500100
	s_cmp_lt_i32 s80, s81                                      // 0000000053DC: BF045150
	s_cbranch_scc0 label_0A5E                                  // 0000000053E0: BF8400E5
	s_waitcnt vmcnt(0) lgkmcnt(0)                              // 0000000053E4: BF8C0070
	s_barrier                                                  // 0000000053E8: BF8A0000
	v_mfma_f32_16x16x32_fp8_fp8 v[128:131], a[0:1], v[176:177], v[128:131]// 0000000053EC: D3F30080 0E036100
	buffer_load_dwordx4 a[32:35], v32, s[92:95], 0 offen       // 0000000053F4: E05C1000 80972020
	v_mfma_f32_16x16x32_fp8_fp8 v[128:131], a[2:3], v[178:179], v[128:131]// 0000000053FC: D3F30080 0E036502
	v_mfma_f32_16x16x32_fp8_fp8 v[128:131], a[4:5], v[180:181], v[128:131]// 000000005404: D3F30080 0E036904
	buffer_load_dword v24, s[20:23], 0 offen lds               // 00000000540C: E0511000 80050018
	s_add_u32 m0, 0x100, s50                                   // 000000005414: 807C32FF 00000100
	v_mfma_f32_16x16x32_fp8_fp8 v[128:131], a[6:7], v[182:183], v[128:131]// 00000000541C: D3F30080 0E036D06
	v_mfma_f32_16x16x32_fp8_fp8 v[128:131], a[8:9], v[184:185], v[128:131]// 000000005424: D3F30080 0E037108
	buffer_load_dwordx4 a[36:39], v32, s[92:95], 0 offen offset:1024// 00000000542C: E05C1400 80972420
	v_mfma_f32_16x16x32_fp8_fp8 v[128:131], a[10:11], v[186:187], v[128:131]// 000000005434: D3F30080 0E03750A
	v_mfma_f32_16x16x32_fp8_fp8 v[128:131], a[12:13], v[188:189], v[128:131]// 00000000543C: D3F30080 0E03790C
	buffer_load_dword v25, s[20:23], 0 offen lds               // 000000005444: E0511000 80050019
	s_add_u32 m0, 0x200, s50                                   // 00000000544C: 807C32FF 00000200
	v_mfma_f32_16x16x32_fp8_fp8 v[128:131], a[14:15], v[190:191], v[128:131]// 000000005454: D3F30080 0E037D0E
	v_mfma_f32_16x16x32_fp8_fp8 v[132:135], a[0:1], v[192:193], v[132:135]// 00000000545C: D3F30084 0E138100
	buffer_load_dwordx4 a[40:43], v32, s[92:95], 0 offen offset:2048// 000000005464: E05C1800 80972820
	v_mfma_f32_16x16x32_fp8_fp8 v[132:135], a[2:3], v[194:195], v[132:135]// 00000000546C: D3F30084 0E138502
	v_mfma_f32_16x16x32_fp8_fp8 v[132:135], a[4:5], v[196:197], v[132:135]// 000000005474: D3F30084 0E138904
	buffer_load_dword v26, s[20:23], 0 offen lds               // 00000000547C: E0511000 8005001A
	s_add_u32 m0, 0x300, s50                                   // 000000005484: 807C32FF 00000300
	v_mfma_f32_16x16x32_fp8_fp8 v[132:135], a[6:7], v[198:199], v[132:135]// 00000000548C: D3F30084 0E138D06
	v_mfma_f32_16x16x32_fp8_fp8 v[132:135], a[8:9], v[200:201], v[132:135]// 000000005494: D3F30084 0E139108
	buffer_load_dwordx4 a[44:47], v32, s[92:95], 0 offen offset:3072// 00000000549C: E05C1C00 80972C20
	v_mfma_f32_16x16x32_fp8_fp8 v[132:135], a[10:11], v[202:203], v[132:135]// 0000000054A4: D3F30084 0E13950A
	v_mfma_f32_16x16x32_fp8_fp8 v[132:135], a[12:13], v[204:205], v[132:135]// 0000000054AC: D3F30084 0E13990C
	buffer_load_dword v27, s[20:23], 0 offen lds               // 0000000054B4: E0511000 8005001B
	s_add_u32 m0, 0x400, s50                                   // 0000000054BC: 807C32FF 00000400
	v_mfma_f32_16x16x32_fp8_fp8 v[132:135], a[14:15], v[206:207], v[132:135]// 0000000054C4: D3F30084 0E139D0E
	v_mfma_f32_16x16x32_fp8_fp8 v[136:139], a[16:17], v[176:177], v[136:139]// 0000000054CC: D3F30088 0E236110
	buffer_load_dwordx4 a[48:51], v33, s[92:95], 0 offen       // 0000000054D4: E05C1000 80973021
	v_mfma_f32_16x16x32_fp8_fp8 v[136:139], a[18:19], v[178:179], v[136:139]// 0000000054DC: D3F30088 0E236512
	v_mfma_f32_16x16x32_fp8_fp8 v[136:139], a[20:21], v[180:181], v[136:139]// 0000000054E4: D3F30088 0E236914
	buffer_load_dword v28, s[20:23], 0 offen lds               // 0000000054EC: E0511000 8005001C
	s_add_u32 m0, 0x500, s50                                   // 0000000054F4: 807C32FF 00000500
	v_mfma_f32_16x16x32_fp8_fp8 v[136:139], a[22:23], v[182:183], v[136:139]// 0000000054FC: D3F30088 0E236D16
	v_mfma_f32_16x16x32_fp8_fp8 v[136:139], a[24:25], v[184:185], v[136:139]// 000000005504: D3F30088 0E237118
	buffer_load_dwordx4 a[52:55], v33, s[92:95], 0 offen offset:1024// 00000000550C: E05C1400 80973421
	v_mfma_f32_16x16x32_fp8_fp8 v[136:139], a[26:27], v[186:187], v[136:139]// 000000005514: D3F30088 0E23751A
	v_mfma_f32_16x16x32_fp8_fp8 v[136:139], a[28:29], v[188:189], v[136:139]// 00000000551C: D3F30088 0E23791C
	buffer_load_dword v29, s[20:23], 0 offen lds               // 000000005524: E0511000 8005001D
	s_add_u32 m0, 0x600, s50                                   // 00000000552C: 807C32FF 00000600
	v_mfma_f32_16x16x32_fp8_fp8 v[136:139], a[30:31], v[190:191], v[136:139]// 000000005534: D3F30088 0E237D1E
	v_mfma_f32_16x16x32_fp8_fp8 v[140:143], a[16:17], v[192:193], v[140:143]// 00000000553C: D3F3008C 0E338110
	buffer_load_dwordx4 a[56:59], v33, s[92:95], 0 offen offset:2048// 000000005544: E05C1800 80973821
	v_mfma_f32_16x16x32_fp8_fp8 v[140:143], a[18:19], v[194:195], v[140:143]// 00000000554C: D3F3008C 0E338512
	v_mfma_f32_16x16x32_fp8_fp8 v[140:143], a[20:21], v[196:197], v[140:143]// 000000005554: D3F3008C 0E338914
	buffer_load_dword v30, s[20:23], 0 offen lds               // 00000000555C: E0511000 8005001E
	s_add_u32 m0, 0x700, s50                                   // 000000005564: 807C32FF 00000700
	v_mfma_f32_16x16x32_fp8_fp8 v[140:143], a[22:23], v[198:199], v[140:143]// 00000000556C: D3F3008C 0E338D16
	v_mfma_f32_16x16x32_fp8_fp8 v[140:143], a[24:25], v[200:201], v[140:143]// 000000005574: D3F3008C 0E339118
	buffer_load_dwordx4 a[60:63], v33, s[92:95], 0 offen offset:3072// 00000000557C: E05C1C00 80973C21
	v_mfma_f32_16x16x32_fp8_fp8 v[140:143], a[26:27], v[202:203], v[140:143]// 000000005584: D3F3008C 0E33951A
	v_mfma_f32_16x16x32_fp8_fp8 v[140:143], a[28:29], v[204:205], v[140:143]// 00000000558C: D3F3008C 0E33991C
	buffer_load_dword v31, s[20:23], 0 offen lds               // 000000005594: E0511000 8005001F
	s_add_u32 m0, 0, s51                                       // 00000000559C: 807C3380
	v_mfma_f32_16x16x32_fp8_fp8 v[140:143], a[30:31], v[206:207], v[140:143]// 0000000055A0: D3F3008C 0E339D1E
	s_waitcnt vmcnt(0)                                         // 0000000055A8: BF8C0F70
	s_barrier                                                  // 0000000055AC: BF8A0000
	v_mfma_f32_16x16x32_fp8_fp8 v[64:67], a[32:33], v[176:177], v[64:67]// 0000000055B0: D3F30040 0D036120
	buffer_load_dwordx4 a[0:3], v32, s[24:27], 0 offen         // 0000000055B8: E05C1000 80860020
	v_mfma_f32_16x16x32_fp8_fp8 v[64:67], a[34:35], v[178:179], v[64:67]// 0000000055C0: D3F30040 0D036522
	v_mfma_f32_16x16x32_fp8_fp8 v[64:67], a[36:37], v[180:181], v[64:67]// 0000000055C8: D3F30040 0D036924
	ds_read_b128 v[144:147], v2                                // 0000000055D0: D9FE0000 90000002
	v_mfma_f32_16x16x32_fp8_fp8 v[64:67], a[38:39], v[182:183], v[64:67]// 0000000055D8: D3F30040 0D036D26
	v_mfma_f32_16x16x32_fp8_fp8 v[64:67], a[40:41], v[184:185], v[64:67]// 0000000055E0: D3F30040 0D037128
	buffer_load_dwordx4 a[4:7], v32, s[24:27], 0 offen offset:1024// 0000000055E8: E05C1400 80860420
	v_mfma_f32_16x16x32_fp8_fp8 v[64:67], a[42:43], v[186:187], v[64:67]// 0000000055F0: D3F30040 0D03752A
	v_mfma_f32_16x16x32_fp8_fp8 v[64:67], a[44:45], v[188:189], v[64:67]// 0000000055F8: D3F30040 0D03792C
	ds_read_b128 v[148:151], v2 offset:64                      // 000000005600: D9FE0040 94000002
	v_mfma_f32_16x16x32_fp8_fp8 v[64:67], a[46:47], v[190:191], v[64:67]// 000000005608: D3F30040 0D037D2E
	v_mfma_f32_16x16x32_fp8_fp8 v[68:71], a[32:33], v[192:193], v[68:71]// 000000005610: D3F30044 0D138120
	buffer_load_dwordx4 a[8:11], v32, s[24:27], 0 offen offset:2048// 000000005618: E05C1800 80860820
	v_mfma_f32_16x16x32_fp8_fp8 v[68:71], a[34:35], v[194:195], v[68:71]// 000000005620: D3F30044 0D138522
	v_mfma_f32_16x16x32_fp8_fp8 v[68:71], a[36:37], v[196:197], v[68:71]// 000000005628: D3F30044 0D138924
	ds_read_b128 v[152:155], v2 offset:128                     // 000000005630: D9FE0080 98000002
	v_mfma_f32_16x16x32_fp8_fp8 v[68:71], a[38:39], v[198:199], v[68:71]// 000000005638: D3F30044 0D138D26
	v_mfma_f32_16x16x32_fp8_fp8 v[68:71], a[40:41], v[200:201], v[68:71]// 000000005640: D3F30044 0D139128
	buffer_load_dwordx4 a[12:15], v32, s[24:27], 0 offen offset:3072// 000000005648: E05C1C00 80860C20
	v_mfma_f32_16x16x32_fp8_fp8 v[68:71], a[42:43], v[202:203], v[68:71]// 000000005650: D3F30044 0D13952A
	v_mfma_f32_16x16x32_fp8_fp8 v[68:71], a[44:45], v[204:205], v[68:71]// 000000005658: D3F30044 0D13992C
	ds_read_b128 v[156:159], v2 offset:192                     // 000000005660: D9FE00C0 9C000002
	v_mfma_f32_16x16x32_fp8_fp8 v[68:71], a[46:47], v[206:207], v[68:71]// 000000005668: D3F30044 0D139D2E
	v_mfma_f32_16x16x32_fp8_fp8 v[72:75], a[48:49], v[176:177], v[72:75]// 000000005670: D3F30048 0D236130
	buffer_load_dwordx4 a[16:19], v33, s[24:27], 0 offen       // 000000005678: E05C1000 80861021
	v_mfma_f32_16x16x32_fp8_fp8 v[72:75], a[50:51], v[178:179], v[72:75]// 000000005680: D3F30048 0D236532
	v_mfma_f32_16x16x32_fp8_fp8 v[72:75], a[52:53], v[180:181], v[72:75]// 000000005688: D3F30048 0D236934
	ds_read_b128 v[160:163], v2 offset:1024                    // 000000005690: D9FE0400 A0000002
	v_mfma_f32_16x16x32_fp8_fp8 v[72:75], a[54:55], v[182:183], v[72:75]// 000000005698: D3F30048 0D236D36
	v_mfma_f32_16x16x32_fp8_fp8 v[72:75], a[56:57], v[184:185], v[72:75]// 0000000056A0: D3F30048 0D237138
	buffer_load_dwordx4 a[20:23], v33, s[24:27], 0 offen offset:1024// 0000000056A8: E05C1400 80861421
	v_mfma_f32_16x16x32_fp8_fp8 v[72:75], a[58:59], v[186:187], v[72:75]// 0000000056B0: D3F30048 0D23753A
	v_mfma_f32_16x16x32_fp8_fp8 v[72:75], a[60:61], v[188:189], v[72:75]// 0000000056B8: D3F30048 0D23793C
	ds_read_b128 v[164:167], v2 offset:1088                    // 0000000056C0: D9FE0440 A4000002
	v_mfma_f32_16x16x32_fp8_fp8 v[72:75], a[62:63], v[190:191], v[72:75]// 0000000056C8: D3F30048 0D237D3E
	v_mfma_f32_16x16x32_fp8_fp8 v[76:79], a[48:49], v[192:193], v[76:79]// 0000000056D0: D3F3004C 0D338130
	buffer_load_dwordx4 a[24:27], v33, s[24:27], 0 offen offset:2048// 0000000056D8: E05C1800 80861821
	v_mfma_f32_16x16x32_fp8_fp8 v[76:79], a[50:51], v[194:195], v[76:79]// 0000000056E0: D3F3004C 0D338532
	v_mfma_f32_16x16x32_fp8_fp8 v[76:79], a[52:53], v[196:197], v[76:79]// 0000000056E8: D3F3004C 0D338934
	ds_read_b128 v[168:171], v2 offset:1152                    // 0000000056F0: D9FE0480 A8000002
	v_mfma_f32_16x16x32_fp8_fp8 v[76:79], a[54:55], v[198:199], v[76:79]// 0000000056F8: D3F3004C 0D338D36
	v_mfma_f32_16x16x32_fp8_fp8 v[76:79], a[56:57], v[200:201], v[76:79]// 000000005700: D3F3004C 0D339138
	buffer_load_dwordx4 a[28:31], v33, s[24:27], 0 offen offset:3072// 000000005708: E05C1C00 80861C21
	v_mfma_f32_16x16x32_fp8_fp8 v[76:79], a[58:59], v[202:203], v[76:79]// 000000005710: D3F3004C 0D33953A
	v_mfma_f32_16x16x32_fp8_fp8 v[76:79], a[60:61], v[204:205], v[76:79]// 000000005718: D3F3004C 0D33993C
	ds_read_b128 v[172:175], v2 offset:1216                    // 000000005720: D9FE04C0 AC000002
	v_mfma_f32_16x16x32_fp8_fp8 v[76:79], a[62:63], v[206:207], v[76:79]// 000000005728: D3F3004C 0D339D3E
	s_add_u32 s60, 0x200, s80                                  // 000000005730: 803C50FF 00000200
	s_cmp_lt_u32 s60, s81                                      // 000000005738: BF0A513C
	s_cselect_b32 s57, s57, 0                                  // 00000000573C: 85398039
	s_add_u32 s60, 0x200, s80                                  // 000000005740: 803C50FF 00000200
	s_cmp_lt_u32 s60, s81                                      // 000000005748: BF0A513C
	s_cselect_b32 s58, s58, 0                                  // 00000000574C: 853A803A
	s_add_u32 s20, s57, s20                                    // 000000005750: 80141439
	s_addc_u32 s21, 0, s21                                     // 000000005754: 82151580
	s_add_u32 s24, s58, s24                                    // 000000005758: 8018183A
	s_addc_u32 s25, 0, s25                                     // 00000000575C: 82191980
	s_add_u32 s92, s90, s92                                    // 000000005760: 805C5C5A
	s_addc_u32 s93, 0, s93                                     // 000000005764: 825D5D80
	s_addk_i32 s80, 0x100                                      // 000000005768: B7500100
	s_cmp_lt_i32 s80, s81                                      // 00000000576C: BF045150
	s_cbranch_scc0 label_0A5E                                  // 000000005770: BF840001
	s_branch label_0895                                        // 000000005774: BF82FE37

0000000000005778 <label_0A5E>:
	s_mov_b32 s36, -1                                          // 000000005778: BEA400C1
	s_mov_b32 s37, -1                                          // 00000000577C: BEA500C1
	s_mov_b64 s[60:61], 0                                      // 000000005780: BEBC0180
	s_cmp_lt_u32 s82, s66                                      // 000000005784: BF0A4252
	s_cselect_b64 s[20:21], s[36:37], s[60:61]                 // 000000005788: 85943C24
	s_cmp_lt_u32 s83, s66                                      // 00000000578C: BF0A4253
	s_cselect_b64 s[22:23], s[36:37], s[60:61]                 // 000000005790: 85963C24
	s_cmp_lt_u32 s84, s66                                      // 000000005794: BF0A4254
	s_cselect_b64 s[24:25], s[36:37], s[60:61]                 // 000000005798: 85983C24
	s_cmp_lt_u32 s85, s66                                      // 00000000579C: BF0A4255
	s_cselect_b64 s[26:27], s[36:37], s[60:61]                 // 0000000057A0: 859A3C24
	s_cmp_lt_u32 s86, s66                                      // 0000000057A4: BF0A4256
	s_cselect_b64 s[28:29], s[36:37], s[60:61]                 // 0000000057A8: 859C3C24
	s_cmp_lt_u32 s87, s66                                      // 0000000057AC: BF0A4257
	s_cselect_b64 s[30:31], s[36:37], s[60:61]                 // 0000000057B0: 859E3C24
	s_cmp_lt_u32 s88, s66                                      // 0000000057B4: BF0A4258
	s_cselect_b64 s[32:33], s[36:37], s[60:61]                 // 0000000057B8: 85A03C24
	s_cmp_lt_u32 s89, s66                                      // 0000000057BC: BF0A4259
	s_cselect_b64 s[34:35], s[36:37], s[60:61]                 // 0000000057C0: 85A23C24
	v_mul_f32_e32 v128, v13, v128                              // 0000000057C4: 0B01010D
	v_mul_f32_e32 v128, v17, v128                              // 0000000057C8: 0B010111
	v_mul_f32_e32 v129, v13, v129                              // 0000000057CC: 0B03030D
	v_mul_f32_e32 v129, v17, v129                              // 0000000057D0: 0B030311
	v_mul_f32_e32 v130, v13, v130                              // 0000000057D4: 0B05050D
	v_mul_f32_e32 v130, v17, v130                              // 0000000057D8: 0B050511
	v_mul_f32_e32 v131, v13, v131                              // 0000000057DC: 0B07070D
	v_mul_f32_e32 v131, v17, v131                              // 0000000057E0: 0B070711
	v_mul_f32_dpp v128, v15, v128 row_newbcast:0 row_mask:0xf bank_mask:0xf// 0000000057E4: 0B0100FA FF01500F
	v_mul_f32_dpp v129, v15, v129 row_newbcast:1 row_mask:0xf bank_mask:0xf// 0000000057EC: 0B0302FA FF01510F
	v_mul_f32_dpp v130, v15, v130 row_newbcast:2 row_mask:0xf bank_mask:0xf// 0000000057F4: 0B0504FA FF01520F
	v_mul_f32_dpp v131, v15, v131 row_newbcast:3 row_mask:0xf bank_mask:0xf// 0000000057FC: 0B0706FA FF01530F
	v_mul_f32_e32 v132, v14, v132                              // 000000005804: 0B09090E
	v_mul_f32_e32 v132, v18, v132                              // 000000005808: 0B090912
	v_mul_f32_e32 v133, v14, v133                              // 00000000580C: 0B0B0B0E
	v_mul_f32_e32 v133, v18, v133                              // 000000005810: 0B0B0B12
	v_mul_f32_e32 v134, v14, v134                              // 000000005814: 0B0D0D0E
	v_mul_f32_e32 v134, v18, v134                              // 000000005818: 0B0D0D12
	v_mul_f32_e32 v135, v14, v135                              // 00000000581C: 0B0F0F0E
	v_mul_f32_e32 v135, v18, v135                              // 000000005820: 0B0F0F12
	v_mul_f32_dpp v132, v15, v132 row_newbcast:0 row_mask:0xf bank_mask:0xf// 000000005824: 0B0908FA FF01500F
	v_mul_f32_dpp v133, v15, v133 row_newbcast:1 row_mask:0xf bank_mask:0xf// 00000000582C: 0B0B0AFA FF01510F
	v_mul_f32_dpp v134, v15, v134 row_newbcast:2 row_mask:0xf bank_mask:0xf// 000000005834: 0B0D0CFA FF01520F
	v_mul_f32_dpp v135, v15, v135 row_newbcast:3 row_mask:0xf bank_mask:0xf// 00000000583C: 0B0F0EFA FF01530F
	v_mul_f32_e32 v136, v13, v136                              // 000000005844: 0B11110D
	v_mul_f32_e32 v136, v17, v136                              // 000000005848: 0B111111
	v_mul_f32_e32 v137, v13, v137                              // 00000000584C: 0B13130D
	v_mul_f32_e32 v137, v17, v137                              // 000000005850: 0B131311
	v_mul_f32_e32 v138, v13, v138                              // 000000005854: 0B15150D
	v_mul_f32_e32 v138, v17, v138                              // 000000005858: 0B151511
	v_mul_f32_e32 v139, v13, v139                              // 00000000585C: 0B17170D
	v_mul_f32_e32 v139, v17, v139                              // 000000005860: 0B171711
	v_mul_f32_dpp v136, v15, v136 row_newbcast:4 row_mask:0xf bank_mask:0xf// 000000005864: 0B1110FA FF01540F
	v_mul_f32_dpp v137, v15, v137 row_newbcast:5 row_mask:0xf bank_mask:0xf// 00000000586C: 0B1312FA FF01550F
	v_mul_f32_dpp v138, v15, v138 row_newbcast:6 row_mask:0xf bank_mask:0xf// 000000005874: 0B1514FA FF01560F
	v_mul_f32_dpp v139, v15, v139 row_newbcast:7 row_mask:0xf bank_mask:0xf// 00000000587C: 0B1716FA FF01570F
	v_mul_f32_e32 v140, v14, v140                              // 000000005884: 0B19190E
	v_mul_f32_e32 v140, v18, v140                              // 000000005888: 0B191912
	v_mul_f32_e32 v141, v14, v141                              // 00000000588C: 0B1B1B0E
	v_mul_f32_e32 v141, v18, v141                              // 000000005890: 0B1B1B12
	v_mul_f32_e32 v142, v14, v142                              // 000000005894: 0B1D1D0E
	v_mul_f32_e32 v142, v18, v142                              // 000000005898: 0B1D1D12
	v_mul_f32_e32 v143, v14, v143                              // 00000000589C: 0B1F1F0E
	v_mul_f32_e32 v143, v18, v143                              // 0000000058A0: 0B1F1F12
	v_mul_f32_dpp v140, v15, v140 row_newbcast:4 row_mask:0xf bank_mask:0xf// 0000000058A4: 0B1918FA FF01540F
	v_mul_f32_dpp v141, v15, v141 row_newbcast:5 row_mask:0xf bank_mask:0xf// 0000000058AC: 0B1B1AFA FF01550F
	v_mul_f32_dpp v142, v15, v142 row_newbcast:6 row_mask:0xf bank_mask:0xf// 0000000058B4: 0B1D1CFA FF01560F
	v_mul_f32_dpp v143, v15, v143 row_newbcast:7 row_mask:0xf bank_mask:0xf// 0000000058BC: 0B1F1EFA FF01570F
	v_mul_f32_e32 v64, v13, v64                                // 0000000058C4: 0A80810D
	v_mul_f32_e32 v64, v17, v64                                // 0000000058C8: 0A808111
	v_mul_f32_e32 v65, v13, v65                                // 0000000058CC: 0A82830D
	v_mul_f32_e32 v65, v17, v65                                // 0000000058D0: 0A828311
	v_mul_f32_e32 v66, v13, v66                                // 0000000058D4: 0A84850D
	v_mul_f32_e32 v66, v17, v66                                // 0000000058D8: 0A848511
	v_mul_f32_e32 v67, v13, v67                                // 0000000058DC: 0A86870D
	v_mul_f32_e32 v67, v17, v67                                // 0000000058E0: 0A868711
	v_mul_f32_dpp v64, v42, v64 row_newbcast:0 row_mask:0xf bank_mask:0xf// 0000000058E4: 0A8080FA FF01502A
	v_mul_f32_dpp v65, v42, v65 row_newbcast:1 row_mask:0xf bank_mask:0xf// 0000000058EC: 0A8282FA FF01512A
	v_mul_f32_dpp v66, v42, v66 row_newbcast:2 row_mask:0xf bank_mask:0xf// 0000000058F4: 0A8484FA FF01522A
	v_mul_f32_dpp v67, v42, v67 row_newbcast:3 row_mask:0xf bank_mask:0xf// 0000000058FC: 0A8686FA FF01532A
	v_mul_f32_e32 v68, v14, v68                                // 000000005904: 0A88890E
	v_mul_f32_e32 v68, v18, v68                                // 000000005908: 0A888912
	v_mul_f32_e32 v69, v14, v69                                // 00000000590C: 0A8A8B0E
	v_mul_f32_e32 v69, v18, v69                                // 000000005910: 0A8A8B12
	v_mul_f32_e32 v70, v14, v70                                // 000000005914: 0A8C8D0E
	v_mul_f32_e32 v70, v18, v70                                // 000000005918: 0A8C8D12
	v_mul_f32_e32 v71, v14, v71                                // 00000000591C: 0A8E8F0E
	v_mul_f32_e32 v71, v18, v71                                // 000000005920: 0A8E8F12
	v_mul_f32_dpp v68, v42, v68 row_newbcast:0 row_mask:0xf bank_mask:0xf// 000000005924: 0A8888FA FF01502A
	v_mul_f32_dpp v69, v42, v69 row_newbcast:1 row_mask:0xf bank_mask:0xf// 00000000592C: 0A8A8AFA FF01512A
	v_mul_f32_dpp v70, v42, v70 row_newbcast:2 row_mask:0xf bank_mask:0xf// 000000005934: 0A8C8CFA FF01522A
	v_mul_f32_dpp v71, v42, v71 row_newbcast:3 row_mask:0xf bank_mask:0xf// 00000000593C: 0A8E8EFA FF01532A
	v_mul_f32_e32 v72, v13, v72                                // 000000005944: 0A90910D
	v_mul_f32_e32 v72, v17, v72                                // 000000005948: 0A909111
	v_mul_f32_e32 v73, v13, v73                                // 00000000594C: 0A92930D
	v_mul_f32_e32 v73, v17, v73                                // 000000005950: 0A929311
	v_mul_f32_e32 v74, v13, v74                                // 000000005954: 0A94950D
	v_mul_f32_e32 v74, v17, v74                                // 000000005958: 0A949511
	v_mul_f32_e32 v75, v13, v75                                // 00000000595C: 0A96970D
	v_mul_f32_e32 v75, v17, v75                                // 000000005960: 0A969711
	v_mul_f32_dpp v72, v42, v72 row_newbcast:4 row_mask:0xf bank_mask:0xf// 000000005964: 0A9090FA FF01542A
	v_mul_f32_dpp v73, v42, v73 row_newbcast:5 row_mask:0xf bank_mask:0xf// 00000000596C: 0A9292FA FF01552A
	v_mul_f32_dpp v74, v42, v74 row_newbcast:6 row_mask:0xf bank_mask:0xf// 000000005974: 0A9494FA FF01562A
	v_mul_f32_dpp v75, v42, v75 row_newbcast:7 row_mask:0xf bank_mask:0xf// 00000000597C: 0A9696FA FF01572A
	v_mul_f32_e32 v76, v14, v76                                // 000000005984: 0A98990E
	v_mul_f32_e32 v76, v18, v76                                // 000000005988: 0A989912
	v_mul_f32_e32 v77, v14, v77                                // 00000000598C: 0A9A9B0E
	v_mul_f32_e32 v77, v18, v77                                // 000000005990: 0A9A9B12
	v_mul_f32_e32 v78, v14, v78                                // 000000005994: 0A9C9D0E
	v_mul_f32_e32 v78, v18, v78                                // 000000005998: 0A9C9D12
	v_mul_f32_e32 v79, v14, v79                                // 00000000599C: 0A9E9F0E
	v_mul_f32_e32 v79, v18, v79                                // 0000000059A0: 0A9E9F12
	v_mul_f32_dpp v76, v42, v76 row_newbcast:4 row_mask:0xf bank_mask:0xf// 0000000059A4: 0A9898FA FF01542A
	v_mul_f32_dpp v77, v42, v77 row_newbcast:5 row_mask:0xf bank_mask:0xf// 0000000059AC: 0A9A9AFA FF01552A
	v_mul_f32_dpp v78, v42, v78 row_newbcast:6 row_mask:0xf bank_mask:0xf// 0000000059B4: 0A9C9CFA FF01562A
	v_mul_f32_dpp v79, v42, v79 row_newbcast:7 row_mask:0xf bank_mask:0xf// 0000000059BC: 0A9E9EFA FF01572A
	s_waitcnt vmcnt(4)                                         // 0000000059C4: BF8C0F74
	buffer_load_dwordx4 a[0:3], v34, s[12:15], 0 offen         // 0000000059C8: E05C1000 80830022
	v_mul_f32_e64 v44, -v128, s6                               // 0000000059D0: D105002C 20000D80
	v_mul_f32_e64 v45, -v129, s6                               // 0000000059D8: D105002D 20000D81
	v_mul_f32_e64 v46, -v130, s6                               // 0000000059E0: D105002E 20000D82
	v_mul_f32_e64 v47, -v131, s6                               // 0000000059E8: D105002F 20000D83
	v_exp_f32_e32 v44, v44                                     // 0000000059F0: 7E58412C
	v_exp_f32_e32 v45, v45                                     // 0000000059F4: 7E5A412D
	v_exp_f32_e32 v46, v46                                     // 0000000059F8: 7E5C412E
	v_exp_f32_e32 v47, v47                                     // 0000000059FC: 7E5E412F
	buffer_load_dwordx4 a[4:7], v35, s[12:15], 0 offen         // 000000005A00: E05C1000 80830423
	v_add_f32_e64 v44, v44, 1.0                                // 000000005A08: D101002C 0001E52C
	v_add_f32_e64 v45, v45, 1.0                                // 000000005A10: D101002D 0001E52D
	v_add_f32_e64 v46, v46, 1.0                                // 000000005A18: D101002E 0001E52E
	v_add_f32_e64 v47, v47, 1.0                                // 000000005A20: D101002F 0001E52F
	v_rcp_f32_e32 v44, v44                                     // 000000005A28: 7E58452C
	v_rcp_f32_e32 v45, v45                                     // 000000005A2C: 7E5A452D
	v_rcp_f32_e32 v46, v46                                     // 000000005A30: 7E5C452E
	v_rcp_f32_e32 v47, v47                                     // 000000005A34: 7E5E452F
	v_mul_f32_e32 v128, v128, v44                              // 000000005A38: 0B005980
	v_mul_f32_e32 v129, v129, v45                              // 000000005A3C: 0B025B81
	v_mul_f32_e32 v130, v130, v46                              // 000000005A40: 0B045D82
	v_mul_f32_e32 v131, v131, v47                              // 000000005A44: 0B065F83
	v_mul_f32_e32 v128, v128, v64                              // 000000005A48: 0B008180
	v_mul_f32_e32 v129, v129, v65                              // 000000005A4C: 0B028381
	v_mul_f32_e32 v130, v130, v66                              // 000000005A50: 0B048582
	v_mul_f32_e32 v131, v131, v67                              // 000000005A54: 0B068783
	buffer_load_dwordx4 a[8:11], v36, s[12:15], 0 offen        // 000000005A58: E05C1000 80830824
	v_mul_f32_e64 v44, -v132, s6                               // 000000005A60: D105002C 20000D84
	v_mul_f32_e64 v45, -v133, s6                               // 000000005A68: D105002D 20000D85
	v_mul_f32_e64 v46, -v134, s6                               // 000000005A70: D105002E 20000D86
	v_mul_f32_e64 v47, -v135, s6                               // 000000005A78: D105002F 20000D87
	v_exp_f32_e32 v44, v44                                     // 000000005A80: 7E58412C
	v_exp_f32_e32 v45, v45                                     // 000000005A84: 7E5A412D
	v_exp_f32_e32 v46, v46                                     // 000000005A88: 7E5C412E
	v_exp_f32_e32 v47, v47                                     // 000000005A8C: 7E5E412F
	buffer_load_dwordx4 a[12:15], v37, s[12:15], 0 offen       // 000000005A90: E05C1000 80830C25
	s_add_u32 s12, s78, s12                                    // 000000005A98: 800C0C4E
	s_addc_u32 s13, 0, s13                                     // 000000005A9C: 820D0D80
	v_add_f32_e64 v44, v44, 1.0                                // 000000005AA0: D101002C 0001E52C
	v_add_f32_e64 v45, v45, 1.0                                // 000000005AA8: D101002D 0001E52D
	v_add_f32_e64 v46, v46, 1.0                                // 000000005AB0: D101002E 0001E52E
	v_add_f32_e64 v47, v47, 1.0                                // 000000005AB8: D101002F 0001E52F
	v_rcp_f32_e32 v44, v44                                     // 000000005AC0: 7E58452C
	v_rcp_f32_e32 v45, v45                                     // 000000005AC4: 7E5A452D
	v_rcp_f32_e32 v46, v46                                     // 000000005AC8: 7E5C452E
	v_rcp_f32_e32 v47, v47                                     // 000000005ACC: 7E5E452F
	v_mul_f32_e32 v132, v132, v44                              // 000000005AD0: 0B085984
	v_mul_f32_e32 v133, v133, v45                              // 000000005AD4: 0B0A5B85
	v_mul_f32_e32 v134, v134, v46                              // 000000005AD8: 0B0C5D86
	v_mul_f32_e32 v135, v135, v47                              // 000000005ADC: 0B0E5F87
	v_mul_f32_e32 v132, v132, v68                              // 000000005AE0: 0B088984
	v_mul_f32_e32 v133, v133, v69                              // 000000005AE4: 0B0A8B85
	v_mul_f32_e32 v134, v134, v70                              // 000000005AE8: 0B0C8D86
	v_mul_f32_e32 v135, v135, v71                              // 000000005AEC: 0B0E8F87
	s_waitcnt vmcnt(4)                                         // 000000005AF0: BF8C0F74
	buffer_load_dwordx4 a[16:19], v34, s[12:15], 0 offen       // 000000005AF4: E05C1000 80831022
	v_mul_f32_e64 v44, -v136, s6                               // 000000005AFC: D105002C 20000D88
	v_mul_f32_e64 v45, -v137, s6                               // 000000005B04: D105002D 20000D89
	v_mul_f32_e64 v46, -v138, s6                               // 000000005B0C: D105002E 20000D8A
	v_mul_f32_e64 v47, -v139, s6                               // 000000005B14: D105002F 20000D8B
	v_exp_f32_e32 v44, v44                                     // 000000005B1C: 7E58412C
	v_exp_f32_e32 v45, v45                                     // 000000005B20: 7E5A412D
	v_exp_f32_e32 v46, v46                                     // 000000005B24: 7E5C412E
	v_exp_f32_e32 v47, v47                                     // 000000005B28: 7E5E412F
	buffer_load_dwordx4 a[20:23], v35, s[12:15], 0 offen       // 000000005B2C: E05C1000 80831423
	v_add_f32_e64 v44, v44, 1.0                                // 000000005B34: D101002C 0001E52C
	v_add_f32_e64 v45, v45, 1.0                                // 000000005B3C: D101002D 0001E52D
	v_add_f32_e64 v46, v46, 1.0                                // 000000005B44: D101002E 0001E52E
	v_add_f32_e64 v47, v47, 1.0                                // 000000005B4C: D101002F 0001E52F
	v_rcp_f32_e32 v44, v44                                     // 000000005B54: 7E58452C
	v_rcp_f32_e32 v45, v45                                     // 000000005B58: 7E5A452D
	v_rcp_f32_e32 v46, v46                                     // 000000005B5C: 7E5C452E
	v_rcp_f32_e32 v47, v47                                     // 000000005B60: 7E5E452F
	v_mul_f32_e32 v136, v136, v44                              // 000000005B64: 0B105988
	v_mul_f32_e32 v137, v137, v45                              // 000000005B68: 0B125B89
	v_mul_f32_e32 v138, v138, v46                              // 000000005B6C: 0B145D8A
	v_mul_f32_e32 v139, v139, v47                              // 000000005B70: 0B165F8B
	v_mul_f32_e32 v136, v136, v72                              // 000000005B74: 0B109188
	v_mul_f32_e32 v137, v137, v73                              // 000000005B78: 0B129389
	v_mul_f32_e32 v138, v138, v74                              // 000000005B7C: 0B14958A
	v_mul_f32_e32 v139, v139, v75                              // 000000005B80: 0B16978B
	buffer_load_dwordx4 a[24:27], v36, s[12:15], 0 offen       // 000000005B84: E05C1000 80831824
	v_mul_f32_e64 v44, -v140, s6                               // 000000005B8C: D105002C 20000D8C
	v_mul_f32_e64 v45, -v141, s6                               // 000000005B94: D105002D 20000D8D
	v_mul_f32_e64 v46, -v142, s6                               // 000000005B9C: D105002E 20000D8E
	v_mul_f32_e64 v47, -v143, s6                               // 000000005BA4: D105002F 20000D8F
	v_exp_f32_e32 v44, v44                                     // 000000005BAC: 7E58412C
	v_exp_f32_e32 v45, v45                                     // 000000005BB0: 7E5A412D
	v_exp_f32_e32 v46, v46                                     // 000000005BB4: 7E5C412E
	v_exp_f32_e32 v47, v47                                     // 000000005BB8: 7E5E412F
	buffer_load_dwordx4 a[28:31], v37, s[12:15], 0 offen       // 000000005BBC: E05C1000 80831C25
	v_add_f32_e64 v44, v44, 1.0                                // 000000005BC4: D101002C 0001E52C
	v_add_f32_e64 v45, v45, 1.0                                // 000000005BCC: D101002D 0001E52D
	v_add_f32_e64 v46, v46, 1.0                                // 000000005BD4: D101002E 0001E52E
	v_add_f32_e64 v47, v47, 1.0                                // 000000005BDC: D101002F 0001E52F
	v_rcp_f32_e32 v44, v44                                     // 000000005BE4: 7E58452C
	v_rcp_f32_e32 v45, v45                                     // 000000005BE8: 7E5A452D
	v_rcp_f32_e32 v46, v46                                     // 000000005BEC: 7E5C452E
	v_rcp_f32_e32 v47, v47                                     // 000000005BF0: 7E5E452F
	v_mul_f32_e32 v140, v140, v44                              // 000000005BF4: 0B18598C
	v_mul_f32_e32 v141, v141, v45                              // 000000005BF8: 0B1A5B8D
	v_mul_f32_e32 v142, v142, v46                              // 000000005BFC: 0B1C5D8E
	v_mul_f32_e32 v143, v143, v47                              // 000000005C00: 0B1E5F8F
	v_mul_f32_e32 v140, v140, v76                              // 000000005C04: 0B18998C
	v_mul_f32_e32 v141, v141, v77                              // 000000005C08: 0B1A9B8D
	v_mul_f32_e32 v142, v142, v78                              // 000000005C0C: 0B1C9D8E
	v_mul_f32_e32 v143, v143, v79                              // 000000005C10: 0B1E9F8F
	v_lshlrev_b32_e32 v44, 2, v0                               // 000000005C14: 24580082
	s_mul_i32 s60, s82, s71                                    // 000000005C18: 923C4752
	v_add_u32_e64 v80, v44, s60                                // 000000005C1C: D1340050 0000792C
	v_mov_b32_e32 v81, 0                                       // 000000005C24: 7EA20280
	s_mul_i32 s60, s83, s71                                    // 000000005C28: 923C4753
	v_add_u32_e64 v82, v44, s60                                // 000000005C2C: D1340052 0000792C
	v_mov_b32_e32 v83, 0                                       // 000000005C34: 7EA60280
	s_mul_i32 s60, s84, s71                                    // 000000005C38: 923C4754
	v_add_u32_e64 v84, v44, s60                                // 000000005C3C: D1340054 0000792C
	v_mov_b32_e32 v85, 0                                       // 000000005C44: 7EAA0280
	s_mul_i32 s60, s85, s71                                    // 000000005C48: 923C4755
	v_add_u32_e64 v86, v44, s60                                // 000000005C4C: D1340056 0000792C
	v_mov_b32_e32 v87, 0                                       // 000000005C54: 7EAE0280
	s_mul_i32 s60, s86, s71                                    // 000000005C58: 923C4756
	v_add_u32_e64 v88, v44, s60                                // 000000005C5C: D1340058 0000792C
	v_mov_b32_e32 v89, 0                                       // 000000005C64: 7EB20280
	s_mul_i32 s60, s87, s71                                    // 000000005C68: 923C4757
	v_add_u32_e64 v90, v44, s60                                // 000000005C6C: D134005A 0000792C
	v_mov_b32_e32 v91, 0                                       // 000000005C74: 7EB60280
	s_mul_i32 s60, s88, s71                                    // 000000005C78: 923C4758
	v_add_u32_e64 v92, v44, s60                                // 000000005C7C: D134005C 0000792C
	v_mov_b32_e32 v93, 0                                       // 000000005C84: 7EBA0280
	s_mul_i32 s60, s89, s71                                    // 000000005C88: 923C4759
	v_add_u32_e64 v94, v44, s60                                // 000000005C8C: D134005E 0000792C
	v_mov_b32_e32 v95, 0                                       // 000000005C94: 7EBE0280
	buffer_load_dword v11, v5, s[16:19], 0 offen               // 000000005C98: E0501000 80040B05
	v_mov_b32_e32 v20, 0x358637bd                              // 000000005CA0: 7E2802FF 358637BD
	v_mov_b32_e32 v21, 0x358637bd                              // 000000005CA8: 7E2A02FF 358637BD
	v_max3_f32 v20, |v128|, |v129|, v20                        // 000000005CB0: D1D30314 04530380
	v_max3_f32 v20, |v130|, |v131|, v20                        // 000000005CB8: D1D30314 04530782
	v_max3_f32 v21, |v132|, |v133|, v21                        // 000000005CC0: D1D30315 04570B84
	v_max3_f32 v21, |v134|, |v135|, v21                        // 000000005CC8: D1D30315 04570F86
	v_max3_f32 v20, |v136|, |v137|, v20                        // 000000005CD0: D1D30314 04531388
	v_max3_f32 v20, |v138|, |v139|, v20                        // 000000005CD8: D1D30314 0453178A
	v_max3_f32 v21, |v140|, |v141|, v21                        // 000000005CE0: D1D30315 04571B8C
	v_max3_f32 v21, |v142|, |v143|, v21                        // 000000005CE8: D1D30315 04571F8E
	v_lshlrev_b32_e32 v44, 3, v0                               // 000000005CF0: 24580083
	s_mul_i32 s60, 0x200, s7                                   // 000000005CF4: 923C07FF 00000200
	v_add_u32_e32 v44, s60, v44                                // 000000005CFC: 6858583C
	ds_write_b64 v44, v[20:21] offset:16640                    // 000000005D00: D89A4100 0000142C
	s_waitcnt lgkmcnt(0)                                       // 000000005D08: BF8CC07F
	s_barrier                                                  // 000000005D0C: BF8A0000
	v_and_b32_e32 v44, 15, v0                                  // 000000005D10: 2658008F
	v_lshlrev_b32_e32 v44, 3, v44                              // 000000005D14: 24585883
	ds_read_b64 v[96:97], v44 offset:16640                     // 000000005D18: D8EC4100 6000002C
	ds_read_b64 v[98:99], v44 offset:16768                     // 000000005D20: D8EC4180 6200002C
	ds_read_b64 v[100:101], v44 offset:16896                   // 000000005D28: D8EC4200 6400002C
	ds_read_b64 v[102:103], v44 offset:17024                   // 000000005D30: D8EC4280 6600002C
	ds_read_b64 v[104:105], v44 offset:17152                   // 000000005D38: D8EC4300 6800002C
	ds_read_b64 v[106:107], v44 offset:17280                   // 000000005D40: D8EC4380 6A00002C
	ds_read_b64 v[108:109], v44 offset:17408                   // 000000005D48: D8EC4400 6C00002C
	ds_read_b64 v[110:111], v44 offset:17536                   // 000000005D50: D8EC4480 6E00002C
	ds_read_b64 v[112:113], v44 offset:17664                   // 000000005D58: D8EC4500 7000002C
	ds_read_b64 v[114:115], v44 offset:17792                   // 000000005D60: D8EC4580 7200002C
	ds_read_b64 v[116:117], v44 offset:17920                   // 000000005D68: D8EC4600 7400002C
	ds_read_b64 v[118:119], v44 offset:18048                   // 000000005D70: D8EC4680 7600002C
	ds_read_b64 v[120:121], v44 offset:18176                   // 000000005D78: D8EC4700 7800002C
	ds_read_b64 v[122:123], v44 offset:18304                   // 000000005D80: D8EC4780 7A00002C
	ds_read_b64 v[124:125], v44 offset:18432                   // 000000005D88: D8EC4800 7C00002C
	ds_read_b64 v[126:127], v44 offset:18560                   // 000000005D90: D8EC4880 7E00002C
	s_waitcnt lgkmcnt(0)                                       // 000000005D98: BF8CC07F
	v_max3_f32 v20, |v96|, |v98|, v20                          // 000000005D9C: D1D30314 0452C560
	v_max3_f32 v21, |v97|, |v99|, v21                          // 000000005DA4: D1D30315 0456C761
	v_max3_f32 v20, |v100|, |v102|, v20                        // 000000005DAC: D1D30314 0452CD64
	v_max3_f32 v21, |v101|, |v103|, v21                        // 000000005DB4: D1D30315 0456CF65
	v_max3_f32 v20, |v104|, |v106|, v20                        // 000000005DBC: D1D30314 0452D568
	v_max3_f32 v21, |v105|, |v107|, v21                        // 000000005DC4: D1D30315 0456D769
	v_max3_f32 v20, |v108|, |v110|, v20                        // 000000005DCC: D1D30314 0452DD6C
	v_max3_f32 v21, |v109|, |v111|, v21                        // 000000005DD4: D1D30315 0456DF6D
	v_max3_f32 v20, |v112|, |v114|, v20                        // 000000005DDC: D1D30314 0452E570
	v_max3_f32 v21, |v113|, |v115|, v21                        // 000000005DE4: D1D30315 0456E771
	v_max3_f32 v20, |v116|, |v118|, v20                        // 000000005DEC: D1D30314 0452ED74
	v_max3_f32 v21, |v117|, |v119|, v21                        // 000000005DF4: D1D30315 0456EF75
	v_max3_f32 v20, |v120|, |v122|, v20                        // 000000005DFC: D1D30314 0452F578
	v_max3_f32 v21, |v121|, |v123|, v21                        // 000000005E04: D1D30315 0456F779
	v_max3_f32 v20, |v124|, |v126|, v20                        // 000000005E0C: D1D30314 0452FD7C
	v_max3_f32 v21, |v125|, |v127|, v21                        // 000000005E14: D1D30315 0456FF7D
	v_rcp_f32_e32 v20, v20                                     // 000000005E1C: 7E284514
	v_rcp_f32_e32 v21, v21                                     // 000000005E20: 7E2A4515
	v_mov_b32_e32 v44, 0x43700000                              // 000000005E24: 7E5802FF 43700000
	v_mul_f32_e32 v20, v44, v20                                // 000000005E2C: 0A28292C
	v_mul_f32_e32 v21, v44, v21                                // 000000005E30: 0A2A2B2C
	v_mul_f32_e32 v128, v20, v128                              // 000000005E34: 0B010114
	v_mul_f32_e32 v129, v20, v129                              // 000000005E38: 0B030314
	v_mul_f32_e32 v130, v20, v130                              // 000000005E3C: 0B050514
	v_mul_f32_e32 v131, v20, v131                              // 000000005E40: 0B070714
	v_cvt_pk_fp8_f32 v128, v128, v129                          // 000000005E44: D2A20080 00030380
	v_cvt_pk_fp8_f32 v128, v130, v131 op_sel:[0,0,1]           // 000000005E4C: D2A24080 00030782
	v_mul_f32_e32 v132, v21, v132                              // 000000005E54: 0B090915
	v_mul_f32_e32 v133, v21, v133                              // 000000005E58: 0B0B0B15
	v_mul_f32_e32 v134, v21, v134                              // 000000005E5C: 0B0D0D15
	v_mul_f32_e32 v135, v21, v135                              // 000000005E60: 0B0F0F15
	v_cvt_pk_fp8_f32 v129, v132, v133                          // 000000005E64: D2A20081 00030B84
	v_cvt_pk_fp8_f32 v129, v134, v135 op_sel:[0,0,1]           // 000000005E6C: D2A24081 00030F86
	v_mul_f32_e32 v136, v20, v136                              // 000000005E74: 0B111114
	v_mul_f32_e32 v137, v20, v137                              // 000000005E78: 0B131314
	v_mul_f32_e32 v138, v20, v138                              // 000000005E7C: 0B151514
	v_mul_f32_e32 v139, v20, v139                              // 000000005E80: 0B171714
	v_cvt_pk_fp8_f32 v130, v136, v137                          // 000000005E84: D2A20082 00031388
	v_cvt_pk_fp8_f32 v130, v138, v139 op_sel:[0,0,1]           // 000000005E8C: D2A24082 0003178A
	v_mul_f32_e32 v140, v21, v140                              // 000000005E94: 0B191915
	v_mul_f32_e32 v141, v21, v141                              // 000000005E98: 0B1B1B15
	v_mul_f32_e32 v142, v21, v142                              // 000000005E9C: 0B1D1D15
	v_mul_f32_e32 v143, v21, v143                              // 000000005EA0: 0B1F1F15
	v_cvt_pk_fp8_f32 v131, v140, v141                          // 000000005EA4: D2A20083 00031B8C
	v_cvt_pk_fp8_f32 v131, v142, v143 op_sel:[0,0,1]           // 000000005EAC: D2A24083 00031F8E
	v_rcp_f32_e32 v22, v20                                     // 000000005EB4: 7E2C4514
	v_rcp_f32_e32 v23, v21                                     // 000000005EB8: 7E2E4515
	v_lshrrev_b32_e32 v44, 5, v0                               // 000000005EBC: 20580085
	v_lshlrev_b32_e32 v45, 5, v44                              // 000000005EC0: 245A5885
	v_and_b32_e32 v44, 31, v0                                  // 000000005EC4: 2658009F
	v_lshrrev_b32_e32 v46, 4, v44                              // 000000005EC8: 205C5884
	v_add_u32_e32 v45, v46, v45                                // 000000005ECC: 685A5B2E
	v_and_b32_e32 v44, 15, v0                                  // 000000005ED0: 2658008F
	v_lshlrev_b32_e32 v44, 1, v44                              // 000000005ED4: 24585881
	v_add_u32_e32 v45, v44, v45                                // 000000005ED8: 685A5B2C
	v_lshlrev_b32_e32 v44, 2, v45                              // 000000005EDC: 24585A82
	s_mul_i32 s60, 0x100, s7                                   // 000000005EE0: 923C07FF 00000100
	v_add_u32_e64 v44, v44, s60                                // 000000005EE8: D134002C 0000792C
	ds_write_b32 v44, v128 offset:18688                        // 000000005EF0: D81A4900 0000802C
	ds_write_b32 v44, v129 offset:20736                        // 000000005EF8: D81A5100 0000812C
	ds_write_b32 v44, v130 offset:19712                        // 000000005F00: D81A4D00 0000822C
	ds_write_b32 v44, v131 offset:21760                        // 000000005F08: D81A5500 0000832C
	s_waitcnt lgkmcnt(0)                                       // 000000005F10: BF8CC07F
	s_barrier                                                  // 000000005F14: BF8A0000
	v_lshrrev_b32_e32 v44, 4, v0                               // 000000005F18: 20580084
	v_lshlrev_b32_e32 v45, 6, v44                              // 000000005F1C: 245A5886
	v_and_b32_e32 v44, 15, v0                                  // 000000005F20: 2658008F
	v_lshlrev_b32_e32 v44, 1, v44                              // 000000005F24: 24585881
	v_add_u32_e32 v45, v44, v45                                // 000000005F28: 685A5B2C
	v_lshlrev_b32_e32 v44, 2, v45                              // 000000005F2C: 24585A82
	ds_read_b64 v[128:129], v44 offset:18688                   // 000000005F30: D8EC4900 8000002C
	ds_read_b64 v[130:131], v44 offset:18816                   // 000000005F38: D8EC4980 8200002C
	ds_read_b64 v[132:133], v44 offset:19712                   // 000000005F40: D8EC4D00 8400002C
	ds_read_b64 v[134:135], v44 offset:19840                   // 000000005F48: D8EC4D80 8600002C
	ds_read_b64 v[136:137], v44 offset:20736                   // 000000005F50: D8EC5100 8800002C
	ds_read_b64 v[138:139], v44 offset:20864                   // 000000005F58: D8EC5180 8A00002C
	ds_read_b64 v[140:141], v44 offset:21760                   // 000000005F60: D8EC5500 8C00002C
	ds_read_b64 v[142:143], v44 offset:21888                   // 000000005F68: D8EC5580 8E00002C
	s_add_u32 s12, s56, s12                                    // 000000005F70: 800C0C38
	s_addc_u32 s13, 0, s13                                     // 000000005F74: 820D0D80
	s_add_u32 s16, s79, s16                                    // 000000005F78: 8010104F
	s_addc_u32 s17, 0, s17                                     // 000000005F7C: 82111180
	s_mov_b32 s80, 0                                           // 000000005F80: BED00080
	s_waitcnt vmcnt(0) expcnt(0) lgkmcnt(0)                    // 000000005F84: BF8C0000

0000000000005f88 <label_0C62>:
	s_waitcnt vmcnt(21)                                        // 000000005F88: BF8C4F75
	s_barrier                                                  // 000000005F8C: BF8A0000
	v_mfma_f32_16x16x32_fp8_fp8 v[144:147], a[0:1], v[128:129], 0// 000000005F90: D3F30090 0A030100
	buffer_load_dwordx4 a[32:35], v34, s[12:15], 0 offen       // 000000005F98: E05C1000 80832022
	v_mfma_f32_16x16x32_fp8_fp8 v[144:147], a[2:3], v[130:131], v[144:147]// 000000005FA0: D3F30090 0E430502
	v_mfma_f32_16x16x32_fp8_fp8 v[148:151], a[0:1], v[136:137], 0// 000000005FA8: D3F30094 0A031100
	v_mfma_f32_16x16x32_fp8_fp8 v[148:151], a[2:3], v[138:139], v[148:151]// 000000005FB0: D3F30094 0E531502
	v_mfma_f32_16x16x32_fp8_fp8 v[152:155], a[4:5], v[128:129], 0// 000000005FB8: D3F30098 0A030104
	buffer_load_dwordx4 a[36:39], v35, s[12:15], 0 offen       // 000000005FC0: E05C1000 80832423
	v_mfma_f32_16x16x32_fp8_fp8 v[152:155], a[6:7], v[130:131], v[152:155]// 000000005FC8: D3F30098 0E630506
	v_mfma_f32_16x16x32_fp8_fp8 v[156:159], a[4:5], v[136:137], 0// 000000005FD0: D3F3009C 0A031104
	v_mfma_f32_16x16x32_fp8_fp8 v[156:159], a[6:7], v[138:139], v[156:159]// 000000005FD8: D3F3009C 0E731506
	v_mfma_f32_16x16x32_fp8_fp8 v[160:163], a[8:9], v[128:129], 0// 000000005FE0: D3F300A0 0A030108
	buffer_load_dwordx4 a[40:43], v36, s[12:15], 0 offen       // 000000005FE8: E05C1000 80832824
	v_mfma_f32_16x16x32_fp8_fp8 v[160:163], a[10:11], v[130:131], v[160:163]// 000000005FF0: D3F300A0 0E83050A
	v_mfma_f32_16x16x32_fp8_fp8 v[164:167], a[8:9], v[136:137], 0// 000000005FF8: D3F300A4 0A031108
	v_mfma_f32_16x16x32_fp8_fp8 v[164:167], a[10:11], v[138:139], v[164:167]// 000000006000: D3F300A4 0E93150A
	v_mfma_f32_16x16x32_fp8_fp8 v[168:171], a[12:13], v[128:129], 0// 000000006008: D3F300A8 0A03010C
	buffer_load_dwordx4 a[44:47], v37, s[12:15], 0 offen       // 000000006010: E05C1000 80832C25
	s_add_u32 s12, s78, s12                                    // 000000006018: 800C0C4E
	s_addc_u32 s13, 0, s13                                     // 00000000601C: 820D0D80
	v_mfma_f32_16x16x32_fp8_fp8 v[168:171], a[14:15], v[130:131], v[168:171]// 000000006020: D3F300A8 0EA3050E
	v_mfma_f32_16x16x32_fp8_fp8 v[172:175], a[12:13], v[136:137], 0// 000000006028: D3F300AC 0A03110C
	v_mfma_f32_16x16x32_fp8_fp8 v[172:175], a[14:15], v[138:139], v[172:175]// 000000006030: D3F300AC 0EB3150E
	s_waitcnt vmcnt(20)                                        // 000000006038: BF8C4F74
	v_mfma_f32_16x16x32_fp8_fp8 v[144:147], a[16:17], v[132:133], v[144:147]// 00000000603C: D3F30090 0E430910
	buffer_load_dwordx4 a[48:51], v34, s[12:15], 0 offen       // 000000006044: E05C1000 80833022
	v_mfma_f32_16x16x32_fp8_fp8 v[144:147], a[18:19], v[134:135], v[144:147]// 00000000604C: D3F30090 0E430D12
	v_mfma_f32_16x16x32_fp8_fp8 v[148:151], a[16:17], v[140:141], v[148:151]// 000000006054: D3F30094 0E531910
	buffer_load_dword v12, v5, s[16:19], 0 offen               // 00000000605C: E0501000 80040C05
	v_mfma_f32_16x16x32_fp8_fp8 v[148:151], a[18:19], v[142:143], v[148:151]// 000000006064: D3F30094 0E531D12
	v_mfma_f32_16x16x32_fp8_fp8 v[152:155], a[20:21], v[132:133], v[152:155]// 00000000606C: D3F30098 0E630914
	buffer_load_dwordx4 a[52:55], v35, s[12:15], 0 offen       // 000000006074: E05C1000 80833423
	v_mfma_f32_16x16x32_fp8_fp8 v[152:155], a[22:23], v[134:135], v[152:155]// 00000000607C: D3F30098 0E630D16
	v_mfma_f32_16x16x32_fp8_fp8 v[156:159], a[20:21], v[140:141], v[156:159]// 000000006084: D3F3009C 0E731914
	v_mfma_f32_16x16x32_fp8_fp8 v[156:159], a[22:23], v[142:143], v[156:159]// 00000000608C: D3F3009C 0E731D16
	v_mfma_f32_16x16x32_fp8_fp8 v[160:163], a[24:25], v[132:133], v[160:163]// 000000006094: D3F300A0 0E830918
	buffer_load_dwordx4 a[56:59], v36, s[12:15], 0 offen       // 00000000609C: E05C1000 80833824
	v_mfma_f32_16x16x32_fp8_fp8 v[160:163], a[26:27], v[134:135], v[160:163]// 0000000060A4: D3F300A0 0E830D1A
	v_mfma_f32_16x16x32_fp8_fp8 v[164:167], a[24:25], v[140:141], v[164:167]// 0000000060AC: D3F300A4 0E931918
	v_mfma_f32_16x16x32_fp8_fp8 v[164:167], a[26:27], v[142:143], v[164:167]// 0000000060B4: D3F300A4 0E931D1A
	v_mfma_f32_16x16x32_fp8_fp8 v[168:171], a[28:29], v[132:133], v[168:171]// 0000000060BC: D3F300A8 0EA3091C
	buffer_load_dwordx4 a[60:63], v37, s[12:15], 0 offen       // 0000000060C4: E05C1000 80833C25
	v_mfma_f32_16x16x32_fp8_fp8 v[168:171], a[30:31], v[134:135], v[168:171]// 0000000060CC: D3F300A8 0EA30D1E
	v_mfma_f32_16x16x32_fp8_fp8 v[172:175], a[28:29], v[140:141], v[172:175]// 0000000060D4: D3F300AC 0EB3191C
	v_mfma_f32_16x16x32_fp8_fp8 v[172:175], a[30:31], v[142:143], v[172:175]// 0000000060DC: D3F300AC 0EB31D1E
	s_add_u32 s60, 0x200, s80                                  // 0000000060E4: 803C50FF 00000200
	s_cmp_lt_u32 s60, s81                                      // 0000000060EC: BF0A513C
	s_cselect_b32 s56, s56, 0                                  // 0000000060F0: 85388038
	s_cselect_b32 s78, s78, 0                                  // 0000000060F4: 854E804E
	s_cselect_b32 s79, s79, 0                                  // 0000000060F8: 854F804F
	s_add_u32 s12, s56, s12                                    // 0000000060FC: 800C0C38
	s_addc_u32 s13, 0, s13                                     // 000000006100: 820D0D80
	s_add_u32 s16, s79, s16                                    // 000000006104: 8010104F
	s_addc_u32 s17, 0, s17                                     // 000000006108: 82111180
	v_mul_f32_e32 v144, v22, v144                              // 00000000610C: 0B212116
	v_mul_f32_e32 v145, v22, v145                              // 000000006110: 0B232316
	v_mul_f32_e32 v146, v22, v146                              // 000000006114: 0B252516
	v_mul_f32_e32 v147, v22, v147                              // 000000006118: 0B272716
	v_mul_f32_dpp v144, v11, v144 row_newbcast:0 row_mask:0xf bank_mask:0xf// 00000000611C: 0B2120FA FF01500B
	v_mul_f32_dpp v145, v11, v145 row_newbcast:1 row_mask:0xf bank_mask:0xf// 000000006124: 0B2322FA FF01510B
	v_mul_f32_dpp v146, v11, v146 row_newbcast:2 row_mask:0xf bank_mask:0xf// 00000000612C: 0B2524FA FF01520B
	v_mul_f32_dpp v147, v11, v147 row_newbcast:3 row_mask:0xf bank_mask:0xf// 000000006134: 0B2726FA FF01530B
	v_mul_f32_e32 v148, v23, v148                              // 00000000613C: 0B292917
	v_mul_f32_e32 v149, v23, v149                              // 000000006140: 0B2B2B17
	v_mul_f32_e32 v150, v23, v150                              // 000000006144: 0B2D2D17
	v_mul_f32_e32 v151, v23, v151                              // 000000006148: 0B2F2F17
	v_mul_f32_dpp v148, v11, v148 row_newbcast:0 row_mask:0xf bank_mask:0xf// 00000000614C: 0B2928FA FF01500B
	v_mul_f32_dpp v149, v11, v149 row_newbcast:1 row_mask:0xf bank_mask:0xf// 000000006154: 0B2B2AFA FF01510B
	v_mul_f32_dpp v150, v11, v150 row_newbcast:2 row_mask:0xf bank_mask:0xf// 00000000615C: 0B2D2CFA FF01520B
	v_mul_f32_dpp v151, v11, v151 row_newbcast:3 row_mask:0xf bank_mask:0xf// 000000006164: 0B2F2EFA FF01530B
	v_mul_f32_e32 v152, v22, v152                              // 00000000616C: 0B313116
	v_mul_f32_e32 v153, v22, v153                              // 000000006170: 0B333316
	v_mul_f32_e32 v154, v22, v154                              // 000000006174: 0B353516
	v_mul_f32_e32 v155, v22, v155                              // 000000006178: 0B373716
	v_mul_f32_dpp v152, v11, v152 row_newbcast:4 row_mask:0xf bank_mask:0xf// 00000000617C: 0B3130FA FF01540B
	v_mul_f32_dpp v153, v11, v153 row_newbcast:5 row_mask:0xf bank_mask:0xf// 000000006184: 0B3332FA FF01550B
	v_mul_f32_dpp v154, v11, v154 row_newbcast:6 row_mask:0xf bank_mask:0xf// 00000000618C: 0B3534FA FF01560B
	v_mul_f32_dpp v155, v11, v155 row_newbcast:7 row_mask:0xf bank_mask:0xf// 000000006194: 0B3736FA FF01570B
	v_mul_f32_e32 v156, v23, v156                              // 00000000619C: 0B393917
	v_mul_f32_e32 v157, v23, v157                              // 0000000061A0: 0B3B3B17
	v_mul_f32_e32 v158, v23, v158                              // 0000000061A4: 0B3D3D17
	v_mul_f32_e32 v159, v23, v159                              // 0000000061A8: 0B3F3F17
	v_mul_f32_dpp v156, v11, v156 row_newbcast:4 row_mask:0xf bank_mask:0xf// 0000000061AC: 0B3938FA FF01540B
	v_mul_f32_dpp v157, v11, v157 row_newbcast:5 row_mask:0xf bank_mask:0xf// 0000000061B4: 0B3B3AFA FF01550B
	v_mul_f32_dpp v158, v11, v158 row_newbcast:6 row_mask:0xf bank_mask:0xf// 0000000061BC: 0B3D3CFA FF01560B
	v_mul_f32_dpp v159, v11, v159 row_newbcast:7 row_mask:0xf bank_mask:0xf// 0000000061C4: 0B3F3EFA FF01570B
	v_mul_f32_e32 v160, v22, v160                              // 0000000061CC: 0B414116
	v_mul_f32_e32 v161, v22, v161                              // 0000000061D0: 0B434316
	v_mul_f32_e32 v162, v22, v162                              // 0000000061D4: 0B454516
	v_mul_f32_e32 v163, v22, v163                              // 0000000061D8: 0B474716
	v_mul_f32_dpp v160, v11, v160 row_newbcast:8 row_mask:0xf bank_mask:0xf// 0000000061DC: 0B4140FA FF01580B
	v_mul_f32_dpp v161, v11, v161 row_newbcast:9 row_mask:0xf bank_mask:0xf// 0000000061E4: 0B4342FA FF01590B
	v_mul_f32_dpp v162, v11, v162 row_newbcast:10 row_mask:0xf bank_mask:0xf// 0000000061EC: 0B4544FA FF015A0B
	v_mul_f32_dpp v163, v11, v163 row_newbcast:11 row_mask:0xf bank_mask:0xf// 0000000061F4: 0B4746FA FF015B0B
	v_mul_f32_e32 v164, v23, v164                              // 0000000061FC: 0B494917
	v_mul_f32_e32 v165, v23, v165                              // 000000006200: 0B4B4B17
	v_mul_f32_e32 v166, v23, v166                              // 000000006204: 0B4D4D17
	v_mul_f32_e32 v167, v23, v167                              // 000000006208: 0B4F4F17
	v_mul_f32_dpp v164, v11, v164 row_newbcast:8 row_mask:0xf bank_mask:0xf// 00000000620C: 0B4948FA FF01580B
	v_mul_f32_dpp v165, v11, v165 row_newbcast:9 row_mask:0xf bank_mask:0xf// 000000006214: 0B4B4AFA FF01590B
	v_mul_f32_dpp v166, v11, v166 row_newbcast:10 row_mask:0xf bank_mask:0xf// 00000000621C: 0B4D4CFA FF015A0B
	v_mul_f32_dpp v167, v11, v167 row_newbcast:11 row_mask:0xf bank_mask:0xf// 000000006224: 0B4F4EFA FF015B0B
	v_mul_f32_e32 v168, v22, v168                              // 00000000622C: 0B515116
	v_mul_f32_e32 v169, v22, v169                              // 000000006230: 0B535316
	v_mul_f32_e32 v170, v22, v170                              // 000000006234: 0B555516
	v_mul_f32_e32 v171, v22, v171                              // 000000006238: 0B575716
	v_mul_f32_dpp v168, v11, v168 row_newbcast:12 row_mask:0xf bank_mask:0xf// 00000000623C: 0B5150FA FF015C0B
	v_mul_f32_dpp v169, v11, v169 row_newbcast:13 row_mask:0xf bank_mask:0xf// 000000006244: 0B5352FA FF015D0B
	v_mul_f32_dpp v170, v11, v170 row_newbcast:14 row_mask:0xf bank_mask:0xf// 00000000624C: 0B5554FA FF015E0B
	v_mul_f32_dpp v171, v11, v171 row_newbcast:15 row_mask:0xf bank_mask:0xf// 000000006254: 0B5756FA FF015F0B
	v_mul_f32_e32 v172, v23, v172                              // 00000000625C: 0B595917
	v_mul_f32_e32 v173, v23, v173                              // 000000006260: 0B5B5B17
	v_mul_f32_e32 v174, v23, v174                              // 000000006264: 0B5D5D17
	v_mul_f32_e32 v175, v23, v175                              // 000000006268: 0B5F5F17
	v_mul_f32_dpp v172, v11, v172 row_newbcast:12 row_mask:0xf bank_mask:0xf// 00000000626C: 0B5958FA FF015C0B
	v_mul_f32_dpp v173, v11, v173 row_newbcast:13 row_mask:0xf bank_mask:0xf// 000000006274: 0B5B5AFA FF015D0B
	v_mul_f32_dpp v174, v11, v174 row_newbcast:14 row_mask:0xf bank_mask:0xf// 00000000627C: 0B5D5CFA FF015E0B
	v_mul_f32_dpp v175, v11, v175 row_newbcast:15 row_mask:0xf bank_mask:0xf// 000000006284: 0B5F5EFA FF015F0B
	v_cvt_pkrtz_f16_f32 v144, v144, v145                       // 00000000628C: D2960090 00032390
	v_cvt_pkrtz_f16_f32 v145, v146, v147                       // 000000006294: D2960091 00032792
	v_cvt_pkrtz_f16_f32 v146, v148, v149                       // 00000000629C: D2960092 00032B94
	v_cvt_pkrtz_f16_f32 v147, v150, v151                       // 0000000062A4: D2960093 00032F96
	v_cvt_pkrtz_f16_f32 v148, v152, v153                       // 0000000062AC: D2960094 00033398
	v_cvt_pkrtz_f16_f32 v149, v154, v155                       // 0000000062B4: D2960095 0003379A
	v_cvt_pkrtz_f16_f32 v150, v156, v157                       // 0000000062BC: D2960096 00033B9C
	v_cvt_pkrtz_f16_f32 v151, v158, v159                       // 0000000062C4: D2960097 00033F9E
	v_cvt_pkrtz_f16_f32 v152, v160, v161                       // 0000000062CC: D2960098 000343A0
	v_cvt_pkrtz_f16_f32 v153, v162, v163                       // 0000000062D4: D2960099 000347A2
	v_cvt_pkrtz_f16_f32 v154, v164, v165                       // 0000000062DC: D296009A 00034BA4
	v_cvt_pkrtz_f16_f32 v155, v166, v167                       // 0000000062E4: D296009B 00034FA6
	v_cvt_pkrtz_f16_f32 v156, v168, v169                       // 0000000062EC: D296009C 000353A8
	v_cvt_pkrtz_f16_f32 v157, v170, v171                       // 0000000062F4: D296009D 000357AA
	v_cvt_pkrtz_f16_f32 v158, v172, v173                       // 0000000062FC: D296009E 00035BAC
	v_cvt_pkrtz_f16_f32 v159, v174, v175                       // 000000006304: D296009F 00035FAE
	ds_write_b64 v3, v[144:145] offset:22784                   // 00000000630C: D89A5900 00009003
	ds_write_b64 v3, v[146:147] offset:31488                   // 000000006314: D89A7B00 00009203
	ds_write_b64 v3, v[148:149] offset:24960                   // 00000000631C: D89A6180 00009403
	ds_write_b64 v3, v[150:151] offset:33664                   // 000000006324: D89A8380 00009603
	ds_write_b64 v3, v[152:153] offset:27136                   // 00000000632C: D89A6A00 00009803
	ds_write_b64 v3, v[154:155] offset:35840                   // 000000006334: D89A8C00 00009A03
	ds_write_b64 v3, v[156:157] offset:29312                   // 00000000633C: D89A7280 00009C03
	ds_write_b64 v3, v[158:159] offset:38016                   // 000000006344: D89A9480 00009E03
	s_waitcnt lgkmcnt(0)                                       // 00000000634C: BF8CC07F
	s_barrier                                                  // 000000006350: BF8A0000
	ds_read_b32 v64, v4 offset:22784                           // 000000006354: D86C5900 40000004
	ds_read_b32 v65, v4 offset:27136                           // 00000000635C: D86C6A00 41000004
	ds_read_b32 v66, v4 offset:22816                           // 000000006364: D86C5920 42000004
	ds_read_b32 v67, v4 offset:27168                           // 00000000636C: D86C6A20 43000004
	ds_read_b32 v68, v4 offset:22848                           // 000000006374: D86C5940 44000004
	ds_read_b32 v69, v4 offset:27200                           // 00000000637C: D86C6A40 45000004
	ds_read_b32 v70, v4 offset:22880                           // 000000006384: D86C5960 46000004
	ds_read_b32 v71, v4 offset:27232                           // 00000000638C: D86C6A60 47000004
	ds_read_b32 v72, v4 offset:31488                           // 000000006394: D86C7B00 48000004
	ds_read_b32 v73, v4 offset:35840                           // 00000000639C: D86C8C00 49000004
	ds_read_b32 v74, v4 offset:31520                           // 0000000063A4: D86C7B20 4A000004
	ds_read_b32 v75, v4 offset:35872                           // 0000000063AC: D86C8C20 4B000004
	ds_read_b32 v76, v4 offset:31552                           // 0000000063B4: D86C7B40 4C000004
	ds_read_b32 v77, v4 offset:35904                           // 0000000063BC: D86C8C40 4D000004
	ds_read_b32 v78, v4 offset:31584                           // 0000000063C4: D86C7B60 4E000004
	ds_read_b32 v79, v4 offset:35936                           // 0000000063CC: D86C8C60 4F000004
	s_waitcnt lgkmcnt(0)                                       // 0000000063D4: BF8CC07F
	s_mov_b64 exec, s[20:21]                                   // 0000000063D8: BEFE0114
	global_atomic_pk_add_f16 v80, v64, s[8:9]                  // 0000000063DC: DD388000 00084050
	s_mov_b64 exec, s[36:37]                                   // 0000000063E4: BEFE0124
	s_mov_b64 exec, s[20:21]                                   // 0000000063E8: BEFE0114
	global_atomic_pk_add_f16 v80, v65, s[8:9] offset:256       // 0000000063EC: DD388100 00084150
	s_mov_b64 exec, s[36:37]                                   // 0000000063F4: BEFE0124
	s_mov_b64 exec, s[22:23]                                   // 0000000063F8: BEFE0116
	global_atomic_pk_add_f16 v82, v66, s[8:9]                  // 0000000063FC: DD388000 00084252
	s_mov_b64 exec, s[36:37]                                   // 000000006404: BEFE0124
	s_mov_b64 exec, s[22:23]                                   // 000000006408: BEFE0116
	global_atomic_pk_add_f16 v82, v67, s[8:9] offset:256       // 00000000640C: DD388100 00084352
	s_mov_b64 exec, s[36:37]                                   // 000000006414: BEFE0124
	s_mov_b64 exec, s[24:25]                                   // 000000006418: BEFE0118
	global_atomic_pk_add_f16 v84, v68, s[8:9]                  // 00000000641C: DD388000 00084454
	s_mov_b64 exec, s[36:37]                                   // 000000006424: BEFE0124
	s_mov_b64 exec, s[24:25]                                   // 000000006428: BEFE0118
	global_atomic_pk_add_f16 v84, v69, s[8:9] offset:256       // 00000000642C: DD388100 00084554
	s_mov_b64 exec, s[36:37]                                   // 000000006434: BEFE0124
	s_mov_b64 exec, s[26:27]                                   // 000000006438: BEFE011A
	global_atomic_pk_add_f16 v86, v70, s[8:9]                  // 00000000643C: DD388000 00084656
	s_mov_b64 exec, s[36:37]                                   // 000000006444: BEFE0124
	s_mov_b64 exec, s[26:27]                                   // 000000006448: BEFE011A
	global_atomic_pk_add_f16 v86, v71, s[8:9] offset:256       // 00000000644C: DD388100 00084756
	s_mov_b64 exec, s[36:37]                                   // 000000006454: BEFE0124
	s_mov_b64 exec, s[28:29]                                   // 000000006458: BEFE011C
	global_atomic_pk_add_f16 v88, v72, s[8:9]                  // 00000000645C: DD388000 00084858
	s_mov_b64 exec, s[36:37]                                   // 000000006464: BEFE0124
	s_mov_b64 exec, s[28:29]                                   // 000000006468: BEFE011C
	global_atomic_pk_add_f16 v88, v73, s[8:9] offset:256       // 00000000646C: DD388100 00084958
	s_mov_b64 exec, s[36:37]                                   // 000000006474: BEFE0124
	s_mov_b64 exec, s[30:31]                                   // 000000006478: BEFE011E
	global_atomic_pk_add_f16 v90, v74, s[8:9]                  // 00000000647C: DD388000 00084A5A
	s_mov_b64 exec, s[36:37]                                   // 000000006484: BEFE0124
	s_mov_b64 exec, s[30:31]                                   // 000000006488: BEFE011E
	global_atomic_pk_add_f16 v90, v75, s[8:9] offset:256       // 00000000648C: DD388100 00084B5A
	s_mov_b64 exec, s[36:37]                                   // 000000006494: BEFE0124
	s_mov_b64 exec, s[32:33]                                   // 000000006498: BEFE0120
	global_atomic_pk_add_f16 v92, v76, s[8:9]                  // 00000000649C: DD388000 00084C5C
	s_mov_b64 exec, s[36:37]                                   // 0000000064A4: BEFE0124
	s_mov_b64 exec, s[32:33]                                   // 0000000064A8: BEFE0120
	global_atomic_pk_add_f16 v92, v77, s[8:9] offset:256       // 0000000064AC: DD388100 00084D5C
	s_mov_b64 exec, s[36:37]                                   // 0000000064B4: BEFE0124
	s_mov_b64 exec, s[34:35]                                   // 0000000064B8: BEFE0122
	global_atomic_pk_add_f16 v94, v78, s[8:9]                  // 0000000064BC: DD388000 00084E5E
	s_mov_b64 exec, s[36:37]                                   // 0000000064C4: BEFE0124
	s_mov_b64 exec, s[34:35]                                   // 0000000064C8: BEFE0122
	global_atomic_pk_add_f16 v94, v79, s[8:9] offset:256       // 0000000064CC: DD388100 00084F5E
	s_mov_b64 exec, s[36:37]                                   // 0000000064D4: BEFE0124
	s_add_u32 s8, s59, s8                                      // 0000000064D8: 8008083B
	s_addc_u32 s9, 0, s9                                       // 0000000064DC: 82090980
	s_addk_i32 s80, 0x100                                      // 0000000064E0: B7500100
	s_cmp_lt_i32 s80, s81                                      // 0000000064E4: BF045150
	s_cbranch_scc0 label_0892                                  // 0000000064E8: BF84FAD7
	s_waitcnt vmcnt(21)                                        // 0000000064EC: BF8C4F75
	s_barrier                                                  // 0000000064F0: BF8A0000
	v_mfma_f32_16x16x32_fp8_fp8 v[176:179], a[32:33], v[128:129], 0// 0000000064F4: D3F300B0 0A030120
	buffer_load_dwordx4 a[0:3], v34, s[12:15], 0 offen         // 0000000064FC: E05C1000 80830022
	v_mfma_f32_16x16x32_fp8_fp8 v[176:179], a[34:35], v[130:131], v[176:179]// 000000006504: D3F300B0 0EC30522
	v_mfma_f32_16x16x32_fp8_fp8 v[180:183], a[32:33], v[136:137], 0// 00000000650C: D3F300B4 0A031120
	v_mfma_f32_16x16x32_fp8_fp8 v[180:183], a[34:35], v[138:139], v[180:183]// 000000006514: D3F300B4 0ED31522
	v_mfma_f32_16x16x32_fp8_fp8 v[184:187], a[36:37], v[128:129], 0// 00000000651C: D3F300B8 0A030124
	buffer_load_dwordx4 a[4:7], v35, s[12:15], 0 offen         // 000000006524: E05C1000 80830423
	v_mfma_f32_16x16x32_fp8_fp8 v[184:187], a[38:39], v[130:131], v[184:187]// 00000000652C: D3F300B8 0EE30526
	v_mfma_f32_16x16x32_fp8_fp8 v[188:191], a[36:37], v[136:137], 0// 000000006534: D3F300BC 0A031124
	v_mfma_f32_16x16x32_fp8_fp8 v[188:191], a[38:39], v[138:139], v[188:191]// 00000000653C: D3F300BC 0EF31526
	v_mfma_f32_16x16x32_fp8_fp8 v[192:195], a[40:41], v[128:129], 0// 000000006544: D3F300C0 0A030128
	buffer_load_dwordx4 a[8:11], v36, s[12:15], 0 offen        // 00000000654C: E05C1000 80830824
	v_mfma_f32_16x16x32_fp8_fp8 v[192:195], a[42:43], v[130:131], v[192:195]// 000000006554: D3F300C0 0F03052A
	v_mfma_f32_16x16x32_fp8_fp8 v[196:199], a[40:41], v[136:137], 0// 00000000655C: D3F300C4 0A031128
	v_mfma_f32_16x16x32_fp8_fp8 v[196:199], a[42:43], v[138:139], v[196:199]// 000000006564: D3F300C4 0F13152A
	v_mfma_f32_16x16x32_fp8_fp8 v[200:203], a[44:45], v[128:129], 0// 00000000656C: D3F300C8 0A03012C
	buffer_load_dwordx4 a[12:15], v37, s[12:15], 0 offen       // 000000006574: E05C1000 80830C25
	s_add_u32 s12, s78, s12                                    // 00000000657C: 800C0C4E
	s_addc_u32 s13, 0, s13                                     // 000000006580: 820D0D80
	v_mfma_f32_16x16x32_fp8_fp8 v[200:203], a[46:47], v[130:131], v[200:203]// 000000006584: D3F300C8 0F23052E
	v_mfma_f32_16x16x32_fp8_fp8 v[204:207], a[44:45], v[136:137], 0// 00000000658C: D3F300CC 0A03112C
	v_mfma_f32_16x16x32_fp8_fp8 v[204:207], a[46:47], v[138:139], v[204:207]// 000000006594: D3F300CC 0F33152E
	s_waitcnt vmcnt(20)                                        // 00000000659C: BF8C4F74
	v_mfma_f32_16x16x32_fp8_fp8 v[176:179], a[48:49], v[132:133], v[176:179]// 0000000065A0: D3F300B0 0EC30930
	buffer_load_dwordx4 a[16:19], v34, s[12:15], 0 offen       // 0000000065A8: E05C1000 80831022
	v_mfma_f32_16x16x32_fp8_fp8 v[176:179], a[50:51], v[134:135], v[176:179]// 0000000065B0: D3F300B0 0EC30D32
	v_mfma_f32_16x16x32_fp8_fp8 v[180:183], a[48:49], v[140:141], v[180:183]// 0000000065B8: D3F300B4 0ED31930
	buffer_load_dword v11, v5, s[16:19], 0 offen               // 0000000065C0: E0501000 80040B05
	v_mfma_f32_16x16x32_fp8_fp8 v[180:183], a[50:51], v[142:143], v[180:183]// 0000000065C8: D3F300B4 0ED31D32
	v_mfma_f32_16x16x32_fp8_fp8 v[184:187], a[52:53], v[132:133], v[184:187]// 0000000065D0: D3F300B8 0EE30934
	buffer_load_dwordx4 a[20:23], v35, s[12:15], 0 offen       // 0000000065D8: E05C1000 80831423
	v_mfma_f32_16x16x32_fp8_fp8 v[184:187], a[54:55], v[134:135], v[184:187]// 0000000065E0: D3F300B8 0EE30D36
	v_mfma_f32_16x16x32_fp8_fp8 v[188:191], a[52:53], v[140:141], v[188:191]// 0000000065E8: D3F300BC 0EF31934
	v_mfma_f32_16x16x32_fp8_fp8 v[188:191], a[54:55], v[142:143], v[188:191]// 0000000065F0: D3F300BC 0EF31D36
	v_mfma_f32_16x16x32_fp8_fp8 v[192:195], a[56:57], v[132:133], v[192:195]// 0000000065F8: D3F300C0 0F030938
	buffer_load_dwordx4 a[24:27], v36, s[12:15], 0 offen       // 000000006600: E05C1000 80831824
	v_mfma_f32_16x16x32_fp8_fp8 v[192:195], a[58:59], v[134:135], v[192:195]// 000000006608: D3F300C0 0F030D3A
	v_mfma_f32_16x16x32_fp8_fp8 v[196:199], a[56:57], v[140:141], v[196:199]// 000000006610: D3F300C4 0F131938
	v_mfma_f32_16x16x32_fp8_fp8 v[196:199], a[58:59], v[142:143], v[196:199]// 000000006618: D3F300C4 0F131D3A
	v_mfma_f32_16x16x32_fp8_fp8 v[200:203], a[60:61], v[132:133], v[200:203]// 000000006620: D3F300C8 0F23093C
	buffer_load_dwordx4 a[28:31], v37, s[12:15], 0 offen       // 000000006628: E05C1000 80831C25
	v_mfma_f32_16x16x32_fp8_fp8 v[200:203], a[62:63], v[134:135], v[200:203]// 000000006630: D3F300C8 0F230D3E
	v_mfma_f32_16x16x32_fp8_fp8 v[204:207], a[60:61], v[140:141], v[204:207]// 000000006638: D3F300CC 0F33193C
	v_mfma_f32_16x16x32_fp8_fp8 v[204:207], a[62:63], v[142:143], v[204:207]// 000000006640: D3F300CC 0F331D3E
	s_add_u32 s60, 0x200, s80                                  // 000000006648: 803C50FF 00000200
	s_cmp_lt_u32 s60, s81                                      // 000000006650: BF0A513C
	s_cselect_b32 s56, s56, 0                                  // 000000006654: 85388038
	s_cselect_b32 s78, s78, 0                                  // 000000006658: 854E804E
	s_cselect_b32 s79, s79, 0                                  // 00000000665C: 854F804F
	s_add_u32 s12, s56, s12                                    // 000000006660: 800C0C38
	s_addc_u32 s13, 0, s13                                     // 000000006664: 820D0D80
	s_add_u32 s16, s79, s16                                    // 000000006668: 8010104F
	s_addc_u32 s17, 0, s17                                     // 00000000666C: 82111180
	v_mul_f32_e32 v176, v22, v176                              // 000000006670: 0B616116
	v_mul_f32_e32 v177, v22, v177                              // 000000006674: 0B636316
	v_mul_f32_e32 v178, v22, v178                              // 000000006678: 0B656516
	v_mul_f32_e32 v179, v22, v179                              // 00000000667C: 0B676716
	v_mul_f32_dpp v176, v12, v176 row_newbcast:0 row_mask:0xf bank_mask:0xf// 000000006680: 0B6160FA FF01500C
	v_mul_f32_dpp v177, v12, v177 row_newbcast:1 row_mask:0xf bank_mask:0xf// 000000006688: 0B6362FA FF01510C
	v_mul_f32_dpp v178, v12, v178 row_newbcast:2 row_mask:0xf bank_mask:0xf// 000000006690: 0B6564FA FF01520C
	v_mul_f32_dpp v179, v12, v179 row_newbcast:3 row_mask:0xf bank_mask:0xf// 000000006698: 0B6766FA FF01530C
	v_mul_f32_e32 v180, v23, v180                              // 0000000066A0: 0B696917
	v_mul_f32_e32 v181, v23, v181                              // 0000000066A4: 0B6B6B17
	v_mul_f32_e32 v182, v23, v182                              // 0000000066A8: 0B6D6D17
	v_mul_f32_e32 v183, v23, v183                              // 0000000066AC: 0B6F6F17
	v_mul_f32_dpp v180, v12, v180 row_newbcast:0 row_mask:0xf bank_mask:0xf// 0000000066B0: 0B6968FA FF01500C
	v_mul_f32_dpp v181, v12, v181 row_newbcast:1 row_mask:0xf bank_mask:0xf// 0000000066B8: 0B6B6AFA FF01510C
	v_mul_f32_dpp v182, v12, v182 row_newbcast:2 row_mask:0xf bank_mask:0xf// 0000000066C0: 0B6D6CFA FF01520C
	v_mul_f32_dpp v183, v12, v183 row_newbcast:3 row_mask:0xf bank_mask:0xf// 0000000066C8: 0B6F6EFA FF01530C
	v_mul_f32_e32 v184, v22, v184                              // 0000000066D0: 0B717116
	v_mul_f32_e32 v185, v22, v185                              // 0000000066D4: 0B737316
	v_mul_f32_e32 v186, v22, v186                              // 0000000066D8: 0B757516
	v_mul_f32_e32 v187, v22, v187                              // 0000000066DC: 0B777716
	v_mul_f32_dpp v184, v12, v184 row_newbcast:4 row_mask:0xf bank_mask:0xf// 0000000066E0: 0B7170FA FF01540C
	v_mul_f32_dpp v185, v12, v185 row_newbcast:5 row_mask:0xf bank_mask:0xf// 0000000066E8: 0B7372FA FF01550C
	v_mul_f32_dpp v186, v12, v186 row_newbcast:6 row_mask:0xf bank_mask:0xf// 0000000066F0: 0B7574FA FF01560C
	v_mul_f32_dpp v187, v12, v187 row_newbcast:7 row_mask:0xf bank_mask:0xf// 0000000066F8: 0B7776FA FF01570C
	v_mul_f32_e32 v188, v23, v188                              // 000000006700: 0B797917
	v_mul_f32_e32 v189, v23, v189                              // 000000006704: 0B7B7B17
	v_mul_f32_e32 v190, v23, v190                              // 000000006708: 0B7D7D17
	v_mul_f32_e32 v191, v23, v191                              // 00000000670C: 0B7F7F17
	v_mul_f32_dpp v188, v12, v188 row_newbcast:4 row_mask:0xf bank_mask:0xf// 000000006710: 0B7978FA FF01540C
	v_mul_f32_dpp v189, v12, v189 row_newbcast:5 row_mask:0xf bank_mask:0xf// 000000006718: 0B7B7AFA FF01550C
	v_mul_f32_dpp v190, v12, v190 row_newbcast:6 row_mask:0xf bank_mask:0xf// 000000006720: 0B7D7CFA FF01560C
	v_mul_f32_dpp v191, v12, v191 row_newbcast:7 row_mask:0xf bank_mask:0xf// 000000006728: 0B7F7EFA FF01570C
	v_mul_f32_e32 v192, v22, v192                              // 000000006730: 0B818116
	v_mul_f32_e32 v193, v22, v193                              // 000000006734: 0B838316
	v_mul_f32_e32 v194, v22, v194                              // 000000006738: 0B858516
	v_mul_f32_e32 v195, v22, v195                              // 00000000673C: 0B878716
	v_mul_f32_dpp v192, v12, v192 row_newbcast:8 row_mask:0xf bank_mask:0xf// 000000006740: 0B8180FA FF01580C
	v_mul_f32_dpp v193, v12, v193 row_newbcast:9 row_mask:0xf bank_mask:0xf// 000000006748: 0B8382FA FF01590C
	v_mul_f32_dpp v194, v12, v194 row_newbcast:10 row_mask:0xf bank_mask:0xf// 000000006750: 0B8584FA FF015A0C
	v_mul_f32_dpp v195, v12, v195 row_newbcast:11 row_mask:0xf bank_mask:0xf// 000000006758: 0B8786FA FF015B0C
	v_mul_f32_e32 v196, v23, v196                              // 000000006760: 0B898917
	v_mul_f32_e32 v197, v23, v197                              // 000000006764: 0B8B8B17
	v_mul_f32_e32 v198, v23, v198                              // 000000006768: 0B8D8D17
	v_mul_f32_e32 v199, v23, v199                              // 00000000676C: 0B8F8F17
	v_mul_f32_dpp v196, v12, v196 row_newbcast:8 row_mask:0xf bank_mask:0xf// 000000006770: 0B8988FA FF01580C
	v_mul_f32_dpp v197, v12, v197 row_newbcast:9 row_mask:0xf bank_mask:0xf// 000000006778: 0B8B8AFA FF01590C
	v_mul_f32_dpp v198, v12, v198 row_newbcast:10 row_mask:0xf bank_mask:0xf// 000000006780: 0B8D8CFA FF015A0C
	v_mul_f32_dpp v199, v12, v199 row_newbcast:11 row_mask:0xf bank_mask:0xf// 000000006788: 0B8F8EFA FF015B0C
	v_mul_f32_e32 v200, v22, v200                              // 000000006790: 0B919116
	v_mul_f32_e32 v201, v22, v201                              // 000000006794: 0B939316
	v_mul_f32_e32 v202, v22, v202                              // 000000006798: 0B959516
	v_mul_f32_e32 v203, v22, v203                              // 00000000679C: 0B979716
	v_mul_f32_dpp v200, v12, v200 row_newbcast:12 row_mask:0xf bank_mask:0xf// 0000000067A0: 0B9190FA FF015C0C
	v_mul_f32_dpp v201, v12, v201 row_newbcast:13 row_mask:0xf bank_mask:0xf// 0000000067A8: 0B9392FA FF015D0C
	v_mul_f32_dpp v202, v12, v202 row_newbcast:14 row_mask:0xf bank_mask:0xf// 0000000067B0: 0B9594FA FF015E0C
	v_mul_f32_dpp v203, v12, v203 row_newbcast:15 row_mask:0xf bank_mask:0xf// 0000000067B8: 0B9796FA FF015F0C
	v_mul_f32_e32 v204, v23, v204                              // 0000000067C0: 0B999917
	v_mul_f32_e32 v205, v23, v205                              // 0000000067C4: 0B9B9B17
	v_mul_f32_e32 v206, v23, v206                              // 0000000067C8: 0B9D9D17
	v_mul_f32_e32 v207, v23, v207                              // 0000000067CC: 0B9F9F17
	v_mul_f32_dpp v204, v12, v204 row_newbcast:12 row_mask:0xf bank_mask:0xf// 0000000067D0: 0B9998FA FF015C0C
	v_mul_f32_dpp v205, v12, v205 row_newbcast:13 row_mask:0xf bank_mask:0xf// 0000000067D8: 0B9B9AFA FF015D0C
	v_mul_f32_dpp v206, v12, v206 row_newbcast:14 row_mask:0xf bank_mask:0xf// 0000000067E0: 0B9D9CFA FF015E0C
	v_mul_f32_dpp v207, v12, v207 row_newbcast:15 row_mask:0xf bank_mask:0xf// 0000000067E8: 0B9F9EFA FF015F0C
	v_cvt_pkrtz_f16_f32 v176, v176, v177                       // 0000000067F0: D29600B0 000363B0
	v_cvt_pkrtz_f16_f32 v177, v178, v179                       // 0000000067F8: D29600B1 000367B2
	v_cvt_pkrtz_f16_f32 v178, v180, v181                       // 000000006800: D29600B2 00036BB4
	v_cvt_pkrtz_f16_f32 v179, v182, v183                       // 000000006808: D29600B3 00036FB6
	v_cvt_pkrtz_f16_f32 v180, v184, v185                       // 000000006810: D29600B4 000373B8
	v_cvt_pkrtz_f16_f32 v181, v186, v187                       // 000000006818: D29600B5 000377BA
	v_cvt_pkrtz_f16_f32 v182, v188, v189                       // 000000006820: D29600B6 00037BBC
	v_cvt_pkrtz_f16_f32 v183, v190, v191                       // 000000006828: D29600B7 00037FBE
	v_cvt_pkrtz_f16_f32 v184, v192, v193                       // 000000006830: D29600B8 000383C0
	v_cvt_pkrtz_f16_f32 v185, v194, v195                       // 000000006838: D29600B9 000387C2
	v_cvt_pkrtz_f16_f32 v186, v196, v197                       // 000000006840: D29600BA 00038BC4
	v_cvt_pkrtz_f16_f32 v187, v198, v199                       // 000000006848: D29600BB 00038FC6
	v_cvt_pkrtz_f16_f32 v188, v200, v201                       // 000000006850: D29600BC 000393C8
	v_cvt_pkrtz_f16_f32 v189, v202, v203                       // 000000006858: D29600BD 000397CA
	v_cvt_pkrtz_f16_f32 v190, v204, v205                       // 000000006860: D29600BE 00039BCC
	v_cvt_pkrtz_f16_f32 v191, v206, v207                       // 000000006868: D29600BF 00039FCE
	ds_write_b64 v3, v[176:177] offset:22784                   // 000000006870: D89A5900 0000B003
	ds_write_b64 v3, v[178:179] offset:31488                   // 000000006878: D89A7B00 0000B203
	ds_write_b64 v3, v[180:181] offset:24960                   // 000000006880: D89A6180 0000B403
	ds_write_b64 v3, v[182:183] offset:33664                   // 000000006888: D89A8380 0000B603
	ds_write_b64 v3, v[184:185] offset:27136                   // 000000006890: D89A6A00 0000B803
	ds_write_b64 v3, v[186:187] offset:35840                   // 000000006898: D89A8C00 0000BA03
	ds_write_b64 v3, v[188:189] offset:29312                   // 0000000068A0: D89A7280 0000BC03
	ds_write_b64 v3, v[190:191] offset:38016                   // 0000000068A8: D89A9480 0000BE03
	s_waitcnt lgkmcnt(0)                                       // 0000000068B0: BF8CC07F
	s_barrier                                                  // 0000000068B4: BF8A0000
	ds_read_b32 v64, v4 offset:22784                           // 0000000068B8: D86C5900 40000004
	ds_read_b32 v65, v4 offset:27136                           // 0000000068C0: D86C6A00 41000004
	ds_read_b32 v66, v4 offset:22816                           // 0000000068C8: D86C5920 42000004
	ds_read_b32 v67, v4 offset:27168                           // 0000000068D0: D86C6A20 43000004
	ds_read_b32 v68, v4 offset:22848                           // 0000000068D8: D86C5940 44000004
	ds_read_b32 v69, v4 offset:27200                           // 0000000068E0: D86C6A40 45000004
	ds_read_b32 v70, v4 offset:22880                           // 0000000068E8: D86C5960 46000004
	ds_read_b32 v71, v4 offset:27232                           // 0000000068F0: D86C6A60 47000004
	ds_read_b32 v72, v4 offset:31488                           // 0000000068F8: D86C7B00 48000004
	ds_read_b32 v73, v4 offset:35840                           // 000000006900: D86C8C00 49000004
	ds_read_b32 v74, v4 offset:31520                           // 000000006908: D86C7B20 4A000004
	ds_read_b32 v75, v4 offset:35872                           // 000000006910: D86C8C20 4B000004
	ds_read_b32 v76, v4 offset:31552                           // 000000006918: D86C7B40 4C000004
	ds_read_b32 v77, v4 offset:35904                           // 000000006920: D86C8C40 4D000004
	ds_read_b32 v78, v4 offset:31584                           // 000000006928: D86C7B60 4E000004
	ds_read_b32 v79, v4 offset:35936                           // 000000006930: D86C8C60 4F000004
	s_waitcnt lgkmcnt(0)                                       // 000000006938: BF8CC07F
	s_mov_b64 exec, s[20:21]                                   // 00000000693C: BEFE0114
	global_atomic_pk_add_f16 v80, v64, s[8:9]                  // 000000006940: DD388000 00084050
	s_mov_b64 exec, s[36:37]                                   // 000000006948: BEFE0124
	s_mov_b64 exec, s[20:21]                                   // 00000000694C: BEFE0114
	global_atomic_pk_add_f16 v80, v65, s[8:9] offset:256       // 000000006950: DD388100 00084150
	s_mov_b64 exec, s[36:37]                                   // 000000006958: BEFE0124
	s_mov_b64 exec, s[22:23]                                   // 00000000695C: BEFE0116
	global_atomic_pk_add_f16 v82, v66, s[8:9]                  // 000000006960: DD388000 00084252
	s_mov_b64 exec, s[36:37]                                   // 000000006968: BEFE0124
	s_mov_b64 exec, s[22:23]                                   // 00000000696C: BEFE0116
	global_atomic_pk_add_f16 v82, v67, s[8:9] offset:256       // 000000006970: DD388100 00084352
	s_mov_b64 exec, s[36:37]                                   // 000000006978: BEFE0124
	s_mov_b64 exec, s[24:25]                                   // 00000000697C: BEFE0118
	global_atomic_pk_add_f16 v84, v68, s[8:9]                  // 000000006980: DD388000 00084454
	s_mov_b64 exec, s[36:37]                                   // 000000006988: BEFE0124
	s_mov_b64 exec, s[24:25]                                   // 00000000698C: BEFE0118
	global_atomic_pk_add_f16 v84, v69, s[8:9] offset:256       // 000000006990: DD388100 00084554
	s_mov_b64 exec, s[36:37]                                   // 000000006998: BEFE0124
	s_mov_b64 exec, s[26:27]                                   // 00000000699C: BEFE011A
	global_atomic_pk_add_f16 v86, v70, s[8:9]                  // 0000000069A0: DD388000 00084656
	s_mov_b64 exec, s[36:37]                                   // 0000000069A8: BEFE0124
	s_mov_b64 exec, s[26:27]                                   // 0000000069AC: BEFE011A
	global_atomic_pk_add_f16 v86, v71, s[8:9] offset:256       // 0000000069B0: DD388100 00084756
	s_mov_b64 exec, s[36:37]                                   // 0000000069B8: BEFE0124
	s_mov_b64 exec, s[28:29]                                   // 0000000069BC: BEFE011C
	global_atomic_pk_add_f16 v88, v72, s[8:9]                  // 0000000069C0: DD388000 00084858
	s_mov_b64 exec, s[36:37]                                   // 0000000069C8: BEFE0124
	s_mov_b64 exec, s[28:29]                                   // 0000000069CC: BEFE011C
	global_atomic_pk_add_f16 v88, v73, s[8:9] offset:256       // 0000000069D0: DD388100 00084958
	s_mov_b64 exec, s[36:37]                                   // 0000000069D8: BEFE0124
	s_mov_b64 exec, s[30:31]                                   // 0000000069DC: BEFE011E
	global_atomic_pk_add_f16 v90, v74, s[8:9]                  // 0000000069E0: DD388000 00084A5A
	s_mov_b64 exec, s[36:37]                                   // 0000000069E8: BEFE0124
	s_mov_b64 exec, s[30:31]                                   // 0000000069EC: BEFE011E
	global_atomic_pk_add_f16 v90, v75, s[8:9] offset:256       // 0000000069F0: DD388100 00084B5A
	s_mov_b64 exec, s[36:37]                                   // 0000000069F8: BEFE0124
	s_mov_b64 exec, s[32:33]                                   // 0000000069FC: BEFE0120
	global_atomic_pk_add_f16 v92, v76, s[8:9]                  // 000000006A00: DD388000 00084C5C
	s_mov_b64 exec, s[36:37]                                   // 000000006A08: BEFE0124
	s_mov_b64 exec, s[32:33]                                   // 000000006A0C: BEFE0120
	global_atomic_pk_add_f16 v92, v77, s[8:9] offset:256       // 000000006A10: DD388100 00084D5C
	s_mov_b64 exec, s[36:37]                                   // 000000006A18: BEFE0124
	s_mov_b64 exec, s[34:35]                                   // 000000006A1C: BEFE0122
	global_atomic_pk_add_f16 v94, v78, s[8:9]                  // 000000006A20: DD388000 00084E5E
	s_mov_b64 exec, s[36:37]                                   // 000000006A28: BEFE0124
	s_mov_b64 exec, s[34:35]                                   // 000000006A2C: BEFE0122
	global_atomic_pk_add_f16 v94, v79, s[8:9] offset:256       // 000000006A30: DD388100 00084F5E
	s_mov_b64 exec, s[36:37]                                   // 000000006A38: BEFE0124
	s_add_u32 s8, s59, s8                                      // 000000006A3C: 8008083B
	s_addc_u32 s9, 0, s9                                       // 000000006A40: 82090980
	s_addk_i32 s80, 0x100                                      // 000000006A44: B7500100
	s_cmp_lt_i32 s80, s81                                      // 000000006A48: BF045150
	s_cbranch_scc0 label_0892                                  // 000000006A4C: BF84F97E
	s_branch label_0C62                                        // 000000006A50: BF82FD4D

0000000000006a54 <label_0F15>:
	s_waitcnt vmcnt(0) expcnt(0) lgkmcnt(0)                    // 000000006A54: BF8C0000
	s_endpgm                                                   // 000000006A58: BF810000
